;; amdgpu-corpus repo=ROCm/rocFFT kind=compiled arch=gfx1030 opt=O3
	.text
	.amdgcn_target "amdgcn-amd-amdhsa--gfx1030"
	.amdhsa_code_object_version 6
	.protected	fft_rtc_back_len480_factors_10_8_6_wgs_64_tpt_16_halfLds_sp_op_CI_CI_unitstride_sbrr_C2R_dirReg ; -- Begin function fft_rtc_back_len480_factors_10_8_6_wgs_64_tpt_16_halfLds_sp_op_CI_CI_unitstride_sbrr_C2R_dirReg
	.globl	fft_rtc_back_len480_factors_10_8_6_wgs_64_tpt_16_halfLds_sp_op_CI_CI_unitstride_sbrr_C2R_dirReg
	.p2align	8
	.type	fft_rtc_back_len480_factors_10_8_6_wgs_64_tpt_16_halfLds_sp_op_CI_CI_unitstride_sbrr_C2R_dirReg,@function
fft_rtc_back_len480_factors_10_8_6_wgs_64_tpt_16_halfLds_sp_op_CI_CI_unitstride_sbrr_C2R_dirReg: ; @fft_rtc_back_len480_factors_10_8_6_wgs_64_tpt_16_halfLds_sp_op_CI_CI_unitstride_sbrr_C2R_dirReg
; %bb.0:
	s_clause 0x2
	s_load_dwordx4 s[12:15], s[4:5], 0x0
	s_load_dwordx4 s[8:11], s[4:5], 0x58
	;; [unrolled: 1-line block ×3, first 2 shown]
	v_lshrrev_b32_e32 v7, 4, v0
	v_mov_b32_e32 v3, 0
	v_mov_b32_e32 v1, 0
	;; [unrolled: 1-line block ×3, first 2 shown]
	v_lshl_or_b32 v5, s6, 2, v7
	v_mov_b32_e32 v6, v3
	s_waitcnt lgkmcnt(0)
	v_cmp_lt_u64_e64 s0, s[14:15], 2
	s_and_b32 vcc_lo, exec_lo, s0
	s_cbranch_vccnz .LBB0_8
; %bb.1:
	s_load_dwordx2 s[0:1], s[4:5], 0x10
	v_mov_b32_e32 v1, 0
	v_mov_b32_e32 v2, 0
	s_add_u32 s2, s18, 8
	s_addc_u32 s3, s19, 0
	s_add_u32 s6, s16, 8
	s_addc_u32 s7, s17, 0
	v_mov_b32_e32 v63, v2
	v_mov_b32_e32 v62, v1
	s_mov_b64 s[22:23], 1
	s_waitcnt lgkmcnt(0)
	s_add_u32 s20, s0, 8
	s_addc_u32 s21, s1, 0
.LBB0_2:                                ; =>This Inner Loop Header: Depth=1
	s_load_dwordx2 s[24:25], s[20:21], 0x0
                                        ; implicit-def: $vgpr64_vgpr65
	s_mov_b32 s0, exec_lo
	s_waitcnt lgkmcnt(0)
	v_or_b32_e32 v4, s25, v6
	v_cmpx_ne_u64_e32 0, v[3:4]
	s_xor_b32 s1, exec_lo, s0
	s_cbranch_execz .LBB0_4
; %bb.3:                                ;   in Loop: Header=BB0_2 Depth=1
	v_cvt_f32_u32_e32 v4, s24
	v_cvt_f32_u32_e32 v8, s25
	s_sub_u32 s0, 0, s24
	s_subb_u32 s26, 0, s25
	v_fmac_f32_e32 v4, 0x4f800000, v8
	v_rcp_f32_e32 v4, v4
	v_mul_f32_e32 v4, 0x5f7ffffc, v4
	v_mul_f32_e32 v8, 0x2f800000, v4
	v_trunc_f32_e32 v8, v8
	v_fmac_f32_e32 v4, 0xcf800000, v8
	v_cvt_u32_f32_e32 v8, v8
	v_cvt_u32_f32_e32 v4, v4
	v_mul_lo_u32 v9, s0, v8
	v_mul_hi_u32 v10, s0, v4
	v_mul_lo_u32 v11, s26, v4
	v_add_nc_u32_e32 v9, v10, v9
	v_mul_lo_u32 v10, s0, v4
	v_add_nc_u32_e32 v9, v9, v11
	v_mul_hi_u32 v11, v4, v10
	v_mul_lo_u32 v12, v4, v9
	v_mul_hi_u32 v13, v4, v9
	v_mul_hi_u32 v14, v8, v10
	v_mul_lo_u32 v10, v8, v10
	v_mul_hi_u32 v15, v8, v9
	v_mul_lo_u32 v9, v8, v9
	v_add_co_u32 v11, vcc_lo, v11, v12
	v_add_co_ci_u32_e32 v12, vcc_lo, 0, v13, vcc_lo
	v_add_co_u32 v10, vcc_lo, v11, v10
	v_add_co_ci_u32_e32 v10, vcc_lo, v12, v14, vcc_lo
	v_add_co_ci_u32_e32 v11, vcc_lo, 0, v15, vcc_lo
	v_add_co_u32 v9, vcc_lo, v10, v9
	v_add_co_ci_u32_e32 v10, vcc_lo, 0, v11, vcc_lo
	v_add_co_u32 v4, vcc_lo, v4, v9
	v_add_co_ci_u32_e32 v8, vcc_lo, v8, v10, vcc_lo
	v_mul_hi_u32 v9, s0, v4
	v_mul_lo_u32 v11, s26, v4
	v_mul_lo_u32 v10, s0, v8
	v_add_nc_u32_e32 v9, v9, v10
	v_mul_lo_u32 v10, s0, v4
	v_add_nc_u32_e32 v9, v9, v11
	v_mul_hi_u32 v11, v4, v10
	v_mul_lo_u32 v12, v4, v9
	v_mul_hi_u32 v13, v4, v9
	v_mul_hi_u32 v14, v8, v10
	v_mul_lo_u32 v10, v8, v10
	v_mul_hi_u32 v15, v8, v9
	v_mul_lo_u32 v9, v8, v9
	v_add_co_u32 v11, vcc_lo, v11, v12
	v_add_co_ci_u32_e32 v12, vcc_lo, 0, v13, vcc_lo
	v_add_co_u32 v10, vcc_lo, v11, v10
	v_add_co_ci_u32_e32 v10, vcc_lo, v12, v14, vcc_lo
	v_add_co_ci_u32_e32 v11, vcc_lo, 0, v15, vcc_lo
	v_add_co_u32 v9, vcc_lo, v10, v9
	v_add_co_ci_u32_e32 v10, vcc_lo, 0, v11, vcc_lo
	v_add_co_u32 v4, vcc_lo, v4, v9
	v_add_co_ci_u32_e32 v12, vcc_lo, v8, v10, vcc_lo
	v_mul_hi_u32 v14, v5, v4
	v_mad_u64_u32 v[10:11], null, v6, v4, 0
	v_mad_u64_u32 v[8:9], null, v5, v12, 0
	;; [unrolled: 1-line block ×3, first 2 shown]
	v_add_co_u32 v4, vcc_lo, v14, v8
	v_add_co_ci_u32_e32 v8, vcc_lo, 0, v9, vcc_lo
	v_add_co_u32 v4, vcc_lo, v4, v10
	v_add_co_ci_u32_e32 v4, vcc_lo, v8, v11, vcc_lo
	v_add_co_ci_u32_e32 v8, vcc_lo, 0, v13, vcc_lo
	v_add_co_u32 v4, vcc_lo, v4, v12
	v_add_co_ci_u32_e32 v10, vcc_lo, 0, v8, vcc_lo
	v_mul_lo_u32 v11, s25, v4
	v_mad_u64_u32 v[8:9], null, s24, v4, 0
	v_mul_lo_u32 v12, s24, v10
	v_sub_co_u32 v8, vcc_lo, v5, v8
	v_add3_u32 v9, v9, v12, v11
	v_sub_nc_u32_e32 v11, v6, v9
	v_subrev_co_ci_u32_e64 v11, s0, s25, v11, vcc_lo
	v_add_co_u32 v12, s0, v4, 2
	v_add_co_ci_u32_e64 v13, s0, 0, v10, s0
	v_sub_co_u32 v14, s0, v8, s24
	v_sub_co_ci_u32_e32 v9, vcc_lo, v6, v9, vcc_lo
	v_subrev_co_ci_u32_e64 v11, s0, 0, v11, s0
	v_cmp_le_u32_e32 vcc_lo, s24, v14
	v_cmp_eq_u32_e64 s0, s25, v9
	v_cndmask_b32_e64 v14, 0, -1, vcc_lo
	v_cmp_le_u32_e32 vcc_lo, s25, v11
	v_cndmask_b32_e64 v15, 0, -1, vcc_lo
	v_cmp_le_u32_e32 vcc_lo, s24, v8
	;; [unrolled: 2-line block ×3, first 2 shown]
	v_cndmask_b32_e64 v16, 0, -1, vcc_lo
	v_cmp_eq_u32_e32 vcc_lo, s25, v11
	v_cndmask_b32_e64 v8, v16, v8, s0
	v_cndmask_b32_e32 v11, v15, v14, vcc_lo
	v_add_co_u32 v14, vcc_lo, v4, 1
	v_add_co_ci_u32_e32 v15, vcc_lo, 0, v10, vcc_lo
	v_cmp_ne_u32_e32 vcc_lo, 0, v11
	v_cndmask_b32_e32 v9, v15, v13, vcc_lo
	v_cndmask_b32_e32 v11, v14, v12, vcc_lo
	v_cmp_ne_u32_e32 vcc_lo, 0, v8
	v_cndmask_b32_e32 v65, v10, v9, vcc_lo
	v_cndmask_b32_e32 v64, v4, v11, vcc_lo
.LBB0_4:                                ;   in Loop: Header=BB0_2 Depth=1
	s_andn2_saveexec_b32 s0, s1
	s_cbranch_execz .LBB0_6
; %bb.5:                                ;   in Loop: Header=BB0_2 Depth=1
	v_cvt_f32_u32_e32 v4, s24
	s_sub_i32 s1, 0, s24
	v_mov_b32_e32 v65, v3
	v_rcp_iflag_f32_e32 v4, v4
	v_mul_f32_e32 v4, 0x4f7ffffe, v4
	v_cvt_u32_f32_e32 v4, v4
	v_mul_lo_u32 v8, s1, v4
	v_mul_hi_u32 v8, v4, v8
	v_add_nc_u32_e32 v4, v4, v8
	v_mul_hi_u32 v4, v5, v4
	v_mul_lo_u32 v8, v4, s24
	v_add_nc_u32_e32 v9, 1, v4
	v_sub_nc_u32_e32 v8, v5, v8
	v_subrev_nc_u32_e32 v10, s24, v8
	v_cmp_le_u32_e32 vcc_lo, s24, v8
	v_cndmask_b32_e32 v8, v8, v10, vcc_lo
	v_cndmask_b32_e32 v4, v4, v9, vcc_lo
	v_cmp_le_u32_e32 vcc_lo, s24, v8
	v_add_nc_u32_e32 v9, 1, v4
	v_cndmask_b32_e32 v64, v4, v9, vcc_lo
.LBB0_6:                                ;   in Loop: Header=BB0_2 Depth=1
	s_or_b32 exec_lo, exec_lo, s0
	v_mul_lo_u32 v4, v65, s24
	v_mul_lo_u32 v10, v64, s25
	s_load_dwordx2 s[0:1], s[6:7], 0x0
	v_mad_u64_u32 v[8:9], null, v64, s24, 0
	s_load_dwordx2 s[24:25], s[2:3], 0x0
	s_add_u32 s22, s22, 1
	s_addc_u32 s23, s23, 0
	s_add_u32 s2, s2, 8
	s_addc_u32 s3, s3, 0
	s_add_u32 s6, s6, 8
	v_add3_u32 v4, v9, v10, v4
	v_sub_co_u32 v5, vcc_lo, v5, v8
	s_addc_u32 s7, s7, 0
	s_add_u32 s20, s20, 8
	v_sub_co_ci_u32_e32 v4, vcc_lo, v6, v4, vcc_lo
	s_addc_u32 s21, s21, 0
	s_waitcnt lgkmcnt(0)
	v_mul_lo_u32 v6, s0, v4
	v_mul_lo_u32 v8, s1, v5
	v_mad_u64_u32 v[1:2], null, s0, v5, v[1:2]
	v_mul_lo_u32 v4, s24, v4
	v_mul_lo_u32 v9, s25, v5
	v_mad_u64_u32 v[62:63], null, s24, v5, v[62:63]
	v_cmp_ge_u64_e64 s0, s[22:23], s[14:15]
	v_add3_u32 v2, v8, v2, v6
	v_add3_u32 v63, v9, v63, v4
	s_and_b32 vcc_lo, exec_lo, s0
	s_cbranch_vccnz .LBB0_9
; %bb.7:                                ;   in Loop: Header=BB0_2 Depth=1
	v_mov_b32_e32 v5, v64
	v_mov_b32_e32 v6, v65
	s_branch .LBB0_2
.LBB0_8:
	v_mov_b32_e32 v63, v2
	v_mov_b32_e32 v65, v6
	;; [unrolled: 1-line block ×4, first 2 shown]
.LBB0_9:
	s_load_dwordx2 s[0:1], s[4:5], 0x28
	s_lshl_b64 s[4:5], s[14:15], 3
	v_and_b32_e32 v60, 15, v0
	s_add_u32 s2, s18, s4
	s_addc_u32 s3, s19, s5
	s_waitcnt lgkmcnt(0)
	v_cmp_gt_u64_e32 vcc_lo, s[0:1], v[64:65]
	v_cmp_le_u64_e64 s0, s[0:1], v[64:65]
	s_and_saveexec_b32 s1, s0
	s_xor_b32 s0, exec_lo, s1
; %bb.10:
	v_and_b32_e32 v60, 15, v0
                                        ; implicit-def: $vgpr1_vgpr2
; %bb.11:
	s_or_saveexec_b32 s1, s0
	s_load_dwordx2 s[2:3], s[2:3], 0x0
	v_mul_u32_u24_e32 v71, 0x1e1, v7
	v_lshlrev_b32_e32 v73, 3, v71
	s_xor_b32 exec_lo, exec_lo, s1
	s_cbranch_execz .LBB0_15
; %bb.12:
	s_add_u32 s4, s16, s4
	s_addc_u32 s5, s17, s5
	v_lshlrev_b64 v[0:1], 3, v[1:2]
	s_load_dwordx2 s[4:5], s[4:5], 0x0
	v_lshlrev_b32_e32 v61, 3, v60
	v_or_b32_e32 v7, 0x800, v61
	v_or_b32_e32 v8, 0x880, v61
	;; [unrolled: 1-line block ×14, first 2 shown]
	s_waitcnt lgkmcnt(0)
	v_mul_lo_u32 v5, s5, v64
	v_mul_lo_u32 v6, s4, v65
	v_mad_u64_u32 v[3:4], null, s4, v64, 0
	s_mov_b32 s4, exec_lo
	v_add3_u32 v4, v4, v6, v5
	v_lshlrev_b64 v[2:3], 3, v[3:4]
	v_add_co_u32 v2, s0, s8, v2
	v_add_co_ci_u32_e64 v3, s0, s9, v3, s0
	v_add_co_u32 v0, s0, v2, v0
	v_add_co_ci_u32_e64 v1, s0, v3, v1, s0
	;; [unrolled: 2-line block ×17, first 2 shown]
	s_clause 0x1d
	global_load_dwordx2 v[12:13], v[2:3], off
	global_load_dwordx2 v[14:15], v[2:3], off offset:128
	global_load_dwordx2 v[16:17], v[2:3], off offset:256
	;; [unrolled: 1-line block ×15, first 2 shown]
	global_load_dwordx2 v[3:4], v[4:5], off
	global_load_dwordx2 v[5:6], v[6:7], off
	;; [unrolled: 1-line block ×14, first 2 shown]
	v_add3_u32 v2, 0, v73, v61
	v_add_nc_u32_e32 v11, 0x800, v2
	s_waitcnt vmcnt(28)
	ds_write2_b64 v2, v[12:13], v[14:15] offset1:16
	s_waitcnt vmcnt(26)
	ds_write2_b64 v2, v[16:17], v[18:19] offset0:32 offset1:48
	s_waitcnt vmcnt(24)
	ds_write2_b64 v2, v[40:41], v[42:43] offset0:64 offset1:80
	;; [unrolled: 2-line block ×7, first 2 shown]
	s_waitcnt vmcnt(12)
	ds_write2_b64 v11, v[3:4], v[5:6] offset1:16
	s_waitcnt vmcnt(10)
	ds_write2_b64 v11, v[7:8], v[9:10] offset0:32 offset1:48
	s_waitcnt vmcnt(8)
	ds_write2_b64 v11, v[20:21], v[22:23] offset0:64 offset1:80
	;; [unrolled: 2-line block ×6, first 2 shown]
	v_cmpx_eq_u32_e32 15, v60
	s_cbranch_execz .LBB0_14
; %bb.13:
	v_add_co_u32 v0, s0, 0x800, v0
	v_add_co_ci_u32_e64 v1, s0, 0, v1, s0
	v_mov_b32_e32 v60, 15
	global_load_dwordx2 v[0:1], v[0:1], off offset:1792
	s_waitcnt vmcnt(0)
	ds_write_b64 v2, v[0:1] offset:3720
.LBB0_14:
	s_or_b32 exec_lo, exec_lo, s4
.LBB0_15:
	s_or_b32 exec_lo, exec_lo, s1
	v_lshl_add_u32 v70, v71, 3, 0
	v_lshlrev_b32_e32 v0, 3, v60
	s_waitcnt lgkmcnt(0)
	s_barrier
	buffer_gl0_inv
	s_add_u32 s1, s12, 0xeb0
	v_add_nc_u32_e32 v72, v70, v0
	v_sub_nc_u32_e32 v6, v70, v0
	s_addc_u32 s4, s13, 0
	s_mov_b32 s5, exec_lo
	ds_read_b32 v4, v72
	ds_read_b32 v5, v6 offset:3840
                                        ; implicit-def: $vgpr2_vgpr3
	s_waitcnt lgkmcnt(0)
	v_add_f32_e32 v0, v5, v4
	v_sub_f32_e32 v1, v4, v5
	v_cmpx_ne_u32_e32 0, v60
	s_xor_b32 s5, exec_lo, s5
	s_cbranch_execz .LBB0_17
; %bb.16:
	v_mov_b32_e32 v61, 0
	v_add_f32_e32 v7, v5, v4
	v_sub_f32_e32 v8, v4, v5
	v_lshlrev_b64 v[0:1], 3, v[60:61]
	v_add_co_u32 v0, s0, s1, v0
	v_add_co_ci_u32_e64 v1, s0, s4, v1, s0
	global_load_dwordx2 v[2:3], v[0:1], off
	ds_read_b32 v0, v6 offset:3844
	ds_read_b32 v1, v72 offset:4
	s_waitcnt lgkmcnt(0)
	v_add_f32_e32 v9, v0, v1
	v_sub_f32_e32 v0, v1, v0
	s_waitcnt vmcnt(0)
	v_fma_f32 v4, -v8, v3, v7
	v_fma_f32 v5, v9, v3, -v0
	v_fma_f32 v10, v8, v3, v7
	v_fma_f32 v1, v9, v3, v0
	v_fmac_f32_e32 v4, v2, v9
	v_fmac_f32_e32 v5, v8, v2
	v_fma_f32 v0, -v2, v9, v10
	v_fmac_f32_e32 v1, v8, v2
	v_mov_b32_e32 v2, v60
	v_mov_b32_e32 v3, v61
	ds_write_b64 v6, v[4:5] offset:3840
.LBB0_17:
	s_andn2_saveexec_b32 s0, s5
	s_cbranch_execz .LBB0_19
; %bb.18:
	ds_read_b64 v[2:3], v70 offset:1920
	s_waitcnt lgkmcnt(0)
	v_add_f32_e32 v4, v2, v2
	v_mul_f32_e32 v5, -2.0, v3
	v_mov_b32_e32 v2, 0
	v_mov_b32_e32 v3, 0
	ds_write_b64 v70, v[4:5] offset:1920
.LBB0_19:
	s_or_b32 exec_lo, exec_lo, s0
	v_lshlrev_b64 v[2:3], 3, v[2:3]
	v_lshl_add_u32 v61, v60, 3, 0
	v_add_nc_u32_e32 v74, v61, v73
	v_add_co_u32 v2, s0, s1, v2
	v_add_co_ci_u32_e64 v3, s0, s4, v3, s0
	v_cmp_gt_u32_e64 s0, 12, v60
	s_clause 0x6
	global_load_dwordx2 v[4:5], v[2:3], off offset:128
	global_load_dwordx2 v[7:8], v[2:3], off offset:256
	;; [unrolled: 1-line block ×7, first 2 shown]
	ds_write_b64 v72, v[0:1]
	ds_read_b64 v[0:1], v72 offset:128
	ds_read_b64 v[19:20], v6 offset:3712
	global_load_dwordx2 v[21:22], v[2:3], off offset:1024
	s_waitcnt lgkmcnt(0)
	v_add_f32_e32 v23, v0, v19
	v_add_f32_e32 v24, v20, v1
	v_sub_f32_e32 v25, v0, v19
	v_sub_f32_e32 v0, v1, v20
	s_waitcnt vmcnt(7)
	v_fma_f32 v26, v25, v5, v23
	v_fma_f32 v1, v24, v5, v0
	v_fma_f32 v19, -v25, v5, v23
	v_fma_f32 v20, v24, v5, -v0
	v_fma_f32 v0, -v4, v24, v26
	v_fmac_f32_e32 v1, v25, v4
	v_fmac_f32_e32 v19, v4, v24
	v_fmac_f32_e32 v20, v25, v4
	ds_write_b64 v72, v[0:1] offset:128
	ds_write_b64 v6, v[19:20] offset:3712
	ds_read_b64 v[0:1], v72 offset:256
	ds_read_b64 v[4:5], v6 offset:3584
	global_load_dwordx2 v[19:20], v[2:3], off offset:1152
	s_waitcnt lgkmcnt(0)
	v_add_f32_e32 v23, v0, v4
	v_add_f32_e32 v24, v5, v1
	v_sub_f32_e32 v25, v0, v4
	v_sub_f32_e32 v0, v1, v5
	s_waitcnt vmcnt(7)
	v_fma_f32 v26, v25, v8, v23
	v_fma_f32 v1, v24, v8, v0
	v_fma_f32 v4, -v25, v8, v23
	v_fma_f32 v5, v24, v8, -v0
	v_fma_f32 v0, -v7, v24, v26
	v_fmac_f32_e32 v1, v25, v7
	v_fmac_f32_e32 v4, v7, v24
	v_fmac_f32_e32 v5, v25, v7
	ds_write_b64 v72, v[0:1] offset:256
	ds_write_b64 v6, v[4:5] offset:3584
	;; [unrolled: 19-line block ×7, first 2 shown]
	ds_read_b64 v[2:3], v72 offset:1024
	ds_read_b64 v[4:5], v6 offset:2816
	s_waitcnt lgkmcnt(0)
	v_add_f32_e32 v15, v2, v4
	v_add_f32_e32 v16, v5, v3
	v_sub_f32_e32 v17, v2, v4
	v_sub_f32_e32 v2, v3, v5
	s_waitcnt vmcnt(6)
	v_fma_f32 v18, v17, v22, v15
	v_fma_f32 v3, v16, v22, v2
	v_fma_f32 v4, -v17, v22, v15
	v_fma_f32 v5, v16, v22, -v2
	v_fma_f32 v2, -v21, v16, v18
	v_fmac_f32_e32 v3, v17, v21
	v_fmac_f32_e32 v4, v21, v16
	v_fmac_f32_e32 v5, v17, v21
	ds_write_b64 v72, v[2:3] offset:1024
	ds_write_b64 v6, v[4:5] offset:2816
	ds_read_b64 v[2:3], v72 offset:1152
	ds_read_b64 v[4:5], v6 offset:2688
	s_waitcnt lgkmcnt(0)
	v_add_f32_e32 v15, v2, v4
	v_add_f32_e32 v16, v5, v3
	v_sub_f32_e32 v17, v2, v4
	v_sub_f32_e32 v2, v3, v5
	s_waitcnt vmcnt(5)
	v_fma_f32 v18, v17, v20, v15
	v_fma_f32 v3, v16, v20, v2
	v_fma_f32 v4, -v17, v20, v15
	v_fma_f32 v5, v16, v20, -v2
	v_fma_f32 v2, -v19, v16, v18
	v_fmac_f32_e32 v3, v17, v19
	v_fmac_f32_e32 v4, v19, v16
	v_fmac_f32_e32 v5, v17, v19
	ds_write_b64 v72, v[2:3] offset:1152
	ds_write_b64 v6, v[4:5] offset:2688
	;; [unrolled: 18-line block ×4, first 2 shown]
	ds_read_b64 v[2:3], v72 offset:1536
	ds_read_b64 v[4:5], v6 offset:2304
	s_waitcnt lgkmcnt(0)
	v_add_f32_e32 v7, v2, v4
	v_add_f32_e32 v8, v5, v3
	v_sub_f32_e32 v9, v2, v4
	v_sub_f32_e32 v2, v3, v5
	s_waitcnt vmcnt(2)
	v_fma_f32 v10, v9, v12, v7
	v_fma_f32 v3, v8, v12, v2
	v_fma_f32 v4, -v9, v12, v7
	v_fma_f32 v5, v8, v12, -v2
	v_add_nc_u32_e32 v12, 0x800, v74
	v_fma_f32 v2, -v11, v8, v10
	v_fmac_f32_e32 v3, v9, v11
	v_fmac_f32_e32 v4, v11, v8
	;; [unrolled: 1-line block ×3, first 2 shown]
	ds_write_b64 v72, v[2:3] offset:1536
	ds_write_b64 v6, v[4:5] offset:2304
	ds_read_b64 v[2:3], v72 offset:1664
	ds_read_b64 v[4:5], v6 offset:2176
	v_add_nc_u32_e32 v11, 0x400, v74
	s_waitcnt lgkmcnt(0)
	v_add_f32_e32 v7, v2, v4
	v_add_f32_e32 v8, v5, v3
	v_sub_f32_e32 v9, v2, v4
	v_sub_f32_e32 v2, v3, v5
	s_waitcnt vmcnt(1)
	v_fma_f32 v10, v9, v14, v7
	v_fma_f32 v3, v8, v14, v2
	v_fma_f32 v4, -v9, v14, v7
	v_fma_f32 v5, v8, v14, -v2
	v_mul_u32_u24_e32 v7, 10, v60
	v_fma_f32 v2, -v13, v8, v10
	v_fmac_f32_e32 v3, v9, v13
	v_fmac_f32_e32 v4, v13, v8
	;; [unrolled: 1-line block ×3, first 2 shown]
	ds_write_b64 v72, v[2:3] offset:1664
	ds_write_b64 v6, v[4:5] offset:2176
	ds_read_b64 v[2:3], v72 offset:1792
	ds_read_b64 v[4:5], v6 offset:2048
	s_waitcnt lgkmcnt(0)
	v_add_f32_e32 v8, v2, v4
	v_add_f32_e32 v9, v5, v3
	v_sub_f32_e32 v10, v2, v4
	v_sub_f32_e32 v4, v3, v5
	v_lshlrev_b32_e32 v5, 3, v7
	s_waitcnt vmcnt(0)
	v_fma_f32 v7, v10, v1, v8
	v_fma_f32 v2, v9, v1, v4
	v_fma_f32 v3, -v10, v1, v8
	v_fma_f32 v4, v9, v1, -v4
	v_add3_u32 v13, 0, v5, v73
	v_fma_f32 v1, -v0, v9, v7
	v_fmac_f32_e32 v2, v10, v0
	v_fmac_f32_e32 v3, v0, v9
	;; [unrolled: 1-line block ×3, first 2 shown]
	ds_write_b64 v72, v[1:2] offset:1792
	ds_write_b64 v6, v[3:4] offset:2048
	s_waitcnt lgkmcnt(0)
	s_barrier
	buffer_gl0_inv
	s_barrier
	buffer_gl0_inv
	ds_read2_b64 v[1:4], v74 offset0:48 offset1:64
	ds_read2_b64 v[5:8], v74 offset0:144 offset1:160
	;; [unrolled: 1-line block ×14, first 2 shown]
	ds_read_b64 v[9:10], v72
	ds_read_b64 v[79:80], v74 offset:3712
	v_add_nc_u32_e32 v16, 0xa20, v13
	v_add_nc_u32_e32 v17, 0xa30, v13
	;; [unrolled: 1-line block ×5, first 2 shown]
	s_waitcnt lgkmcnt(0)
	s_barrier
	buffer_gl0_inv
	v_add_f32_e32 v112, v34, v38
	v_sub_f32_e32 v124, v38, v42
	v_sub_f32_e32 v125, v42, v38
	;; [unrolled: 1-line block ×3, first 2 shown]
	v_add_f32_e32 v131, v42, v46
	v_add_f32_e32 v0, v1, v5
	;; [unrolled: 1-line block ×5, first 2 shown]
	v_sub_f32_e32 v59, v6, v28
	v_sub_f32_e32 v81, v20, v24
	;; [unrolled: 1-line block ×4, first 2 shown]
	v_add_f32_e32 v88, v20, v24
	v_sub_f32_e32 v89, v19, v23
	v_sub_f32_e32 v90, v6, v20
	v_add_f32_e32 v92, v6, v28
	v_sub_f32_e32 v6, v20, v6
	v_sub_f32_e32 v96, v8, v30
	v_add_f32_e32 v101, v4, v8
	v_add_f32_e32 v102, v22, v26
	v_sub_f32_e32 v104, v8, v22
	v_sub_f32_e32 v105, v22, v8
	v_add_f32_e32 v8, v8, v30
	v_add_f32_e32 v0, v0, v19
	;; [unrolled: 1-line block ×4, first 2 shown]
	v_sub_f32_e32 v94, v54, v58
	v_add_f32_e32 v42, v112, v42
	v_sub_f32_e32 v112, v78, v69
	v_sub_f32_e32 v93, v24, v28
	v_add_f32_e32 v95, v21, v25
	v_sub_f32_e32 v97, v22, v26
	v_sub_f32_e32 v98, v7, v21
	v_sub_f32_e32 v100, v21, v7
	v_sub_f32_e32 v103, v21, v25
	v_add_f32_e32 v110, v32, v36
	v_add_f32_e32 v21, v101, v22
	v_sub_f32_e32 v22, v67, v56
	v_sub_f32_e32 v101, v57, v53
	v_add_f32_e32 v94, v94, v112
	v_sub_f32_e32 v112, v68, v77
	v_fma_f32 v102, -0.5, v102, v4
	v_fmac_f32_e32 v4, -0.5, v8
	v_sub_f32_e32 v8, v76, v80
	v_sub_f32_e32 v83, v27, v23
	;; [unrolled: 1-line block ×5, first 2 shown]
	v_add_f32_e32 v109, v31, v35
	v_add_f32_e32 v111, v33, v37
	;; [unrolled: 1-line block ×5, first 2 shown]
	v_sub_f32_e32 v114, v40, v44
	v_add_f32_e32 v117, v40, v44
	v_sub_f32_e32 v119, v36, v40
	v_sub_f32_e32 v120, v40, v36
	;; [unrolled: 1-line block ×3, first 2 shown]
	v_add_f32_e32 v135, v10, v54
	v_add_f32_e32 v138, v52, v56
	v_sub_f32_e32 v144, v56, v67
	v_sub_f32_e32 v87, v53, v57
	v_add_f32_e32 v40, v110, v40
	v_sub_f32_e32 v110, v56, v80
	v_add_f32_e32 v56, v56, v80
	v_add_f32_e32 v101, v101, v112
	v_sub_f32_e32 v112, v48, v44
	v_add_f32_e32 v6, v6, v93
	v_add_f32_e32 v93, v67, v76
	;; [unrolled: 1-line block ×4, first 2 shown]
	v_sub_f32_e32 v5, v5, v27
	v_sub_f32_e32 v99, v29, v25
	v_add_f32_e32 v113, v39, v43
	v_sub_f32_e32 v115, v35, v39
	v_sub_f32_e32 v116, v39, v35
	;; [unrolled: 1-line block ×3, first 2 shown]
	v_add_f32_e32 v121, v41, v45
	v_sub_f32_e32 v122, v37, v41
	v_sub_f32_e32 v123, v41, v37
	;; [unrolled: 1-line block ×3, first 2 shown]
	v_add_f32_e32 v127, v35, v47
	v_add_f32_e32 v36, v36, v48
	v_sub_f32_e32 v132, v41, v45
	v_add_f32_e32 v136, v57, v68
	v_add_f32_e32 v139, v58, v69
	v_sub_f32_e32 v141, v57, v68
	v_add_f32_e32 v39, v109, v39
	v_add_f32_e32 v41, v111, v41
	v_sub_f32_e32 v109, v58, v54
	v_add_f32_e32 v111, v55, v79
	v_add_f32_e32 v57, v134, v57
	v_sub_f32_e32 v134, v26, v30
	v_add_f32_e32 v82, v82, v83
	v_add_f32_e32 v83, v54, v78
	;; [unrolled: 1-line block ×3, first 2 shown]
	v_sub_f32_e32 v91, v69, v78
	v_add_f32_e32 v85, v85, v86
	v_sub_f32_e32 v86, v45, v49
	v_add_f32_e32 v100, v100, v107
	v_add_f32_e32 v107, v53, v77
	v_fma_f32 v88, -0.5, v88, v2
	v_fma_f32 v11, -0.5, v11, v1
	;; [unrolled: 1-line block ×4, first 2 shown]
	v_add_f32_e32 v137, v51, v55
	v_sub_f32_e32 v7, v7, v29
	v_sub_f32_e32 v108, v30, v26
	;; [unrolled: 1-line block ×6, first 2 shown]
	v_add_f32_e32 v58, v135, v58
	v_sub_f32_e32 v135, v47, v43
	v_add_f32_e32 v87, v87, v133
	v_sub_f32_e32 v133, v43, v47
	v_fma_f32 v93, -0.5, v93, v52
	v_fmac_f32_e32 v52, -0.5, v56
	v_add_f32_e32 v112, v119, v112
	v_sub_f32_e32 v119, v66, v75
	v_fma_f32 v92, -0.5, v95, v3
	v_fma_f32 v95, -0.5, v106, v3
	v_fma_f32 v106, -0.5, v22, v51
	v_add_f32_e32 v0, v0, v23
	v_add_f32_e32 v2, v19, v24
	;; [unrolled: 1-line block ×4, first 2 shown]
	v_sub_f32_e32 v128, v38, v50
	v_add_f32_e32 v129, v37, v49
	v_add_f32_e32 v38, v38, v50
	v_fma_f32 v139, -0.5, v139, v10
	v_fmac_f32_e32 v10, -0.5, v83
	v_sub_f32_e32 v83, v44, v48
	v_add_f32_e32 v91, v109, v91
	v_sub_f32_e32 v109, v49, v45
	v_add_f32_e32 v105, v105, v134
	v_sub_f32_e32 v134, v50, v46
	v_sub_f32_e32 v56, v46, v50
	v_add_f32_e32 v98, v98, v99
	v_sub_f32_e32 v99, v75, v79
	v_add_f32_e32 v86, v123, v86
	v_fma_f32 v123, -0.5, v136, v9
	v_fma_f32 v9, -0.5, v107, v9
	;; [unrolled: 1-line block ×7, first 2 shown]
	v_fmamk_f32 v31, v5, 0x3f737871, v88
	v_fmamk_f32 v32, v59, 0xbf737871, v11
	v_add_f32_e32 v21, v40, v44
	v_fmamk_f32 v44, v89, 0xbf737871, v84
	v_fmac_f32_e32 v84, 0x3f737871, v89
	v_add_f32_e32 v66, v137, v66
	v_fmac_f32_e32 v88, 0xbf737871, v5
	v_add_f32_e32 v115, v115, v135
	v_sub_f32_e32 v135, v67, v76
	v_add_f32_e32 v104, v104, v108
	v_sub_f32_e32 v108, v79, v75
	v_add_f32_e32 v116, v116, v133
	v_sub_f32_e32 v133, v80, v76
	v_add_f32_e32 v67, v138, v67
	v_add_f32_e32 v22, v41, v45
	;; [unrolled: 1-line block ×5, first 2 shown]
	v_fmamk_f32 v45, v103, 0xbf737871, v4
	v_fmac_f32_e32 v4, 0x3f737871, v103
	v_fmamk_f32 v46, v119, 0xbf737871, v52
	v_fmac_f32_e32 v52, 0x3f737871, v119
	v_fmamk_f32 v57, v7, 0x3f737871, v102
	v_fmamk_f32 v58, v96, 0xbf737871, v92
	v_fmac_f32_e32 v102, 0xbf737871, v7
	v_add_f32_e32 v0, v0, v27
	v_add_f32_e32 v3, v3, v29
	;; [unrolled: 1-line block ×3, first 2 shown]
	v_fmamk_f32 v29, v55, 0x3f737871, v93
	v_fmac_f32_e32 v93, 0xbf737871, v55
	v_fmamk_f32 v30, v110, 0xbf737871, v106
	v_add_f32_e32 v83, v120, v83
	v_sub_f32_e32 v54, v54, v78
	v_sub_f32_e32 v53, v53, v77
	v_fma_f32 v120, -0.5, v131, v34
	v_fmac_f32_e32 v34, -0.5, v38
	v_add_f32_e32 v38, v125, v56
	v_add_f32_e32 v56, v143, v99
	;; [unrolled: 1-line block ×4, first 2 shown]
	v_fma_f32 v124, -0.5, v129, v33
	v_add_f32_e32 v20, v39, v43
	v_fmac_f32_e32 v31, 0x3f167918, v89
	v_fmac_f32_e32 v32, 0xbf167918, v81
	v_fmamk_f32 v43, v81, 0x3f737871, v1
	v_fmac_f32_e32 v1, 0xbf737871, v81
	v_fmac_f32_e32 v44, 0x3f167918, v5
	;; [unrolled: 1-line block ×3, first 2 shown]
	v_add_f32_e32 v26, v66, v75
	v_fmac_f32_e32 v11, 0x3f737871, v59
	v_fmac_f32_e32 v88, 0xbf167918, v89
	v_sub_f32_e32 v35, v35, v47
	v_sub_f32_e32 v37, v37, v49
	v_add_f32_e32 v108, v142, v108
	v_add_f32_e32 v109, v144, v133
	v_fma_f32 v33, -0.5, v121, v33
	v_add_f32_e32 v36, v67, v76
	v_fmamk_f32 v68, v97, 0x3f737871, v95
	v_fmamk_f32 v75, v118, 0xbf737871, v117
	v_fmac_f32_e32 v95, 0xbf737871, v97
	v_fmac_f32_e32 v117, 0x3f737871, v118
	;; [unrolled: 1-line block ×3, first 2 shown]
	v_fmamk_f32 v76, v135, 0x3f737871, v51
	v_fmac_f32_e32 v51, 0xbf737871, v135
	v_fmac_f32_e32 v106, 0x3f737871, v110
	;; [unrolled: 1-line block ×11, first 2 shown]
	v_fmamk_f32 v39, v54, 0xbf737871, v123
	v_fmamk_f32 v40, v53, 0x3f737871, v139
	v_add_f32_e32 v2, v2, v28
	v_fmamk_f32 v125, v130, 0x3f737871, v124
	v_fmac_f32_e32 v124, 0xbf737871, v130
	v_add_f32_e32 v28, v20, v47
	v_add_f32_e32 v47, v21, v48
	;; [unrolled: 1-line block ×3, first 2 shown]
	v_fmac_f32_e32 v46, 0x3f167918, v55
	v_fmac_f32_e32 v31, 0x3e9e377a, v90
	;; [unrolled: 1-line block ×3, first 2 shown]
	v_fmamk_f32 v41, v140, 0x3f737871, v9
	v_fmac_f32_e32 v9, 0xbf737871, v140
	v_fmamk_f32 v42, v141, 0xbf737871, v10
	v_fmac_f32_e32 v10, 0x3f737871, v141
	v_fmac_f32_e32 v43, 0xbf167918, v59
	v_fmac_f32_e32 v1, 0x3f167918, v59
	v_fmac_f32_e32 v44, 0x3e9e377a, v6
	v_fmac_f32_e32 v84, 0x3e9e377a, v6
	v_fmac_f32_e32 v123, 0x3f737871, v54
	v_fmac_f32_e32 v139, 0xbf737871, v53
	v_add_f32_e32 v48, v22, v49
	v_add_f32_e32 v49, v23, v50
	;; [unrolled: 1-line block ×4, first 2 shown]
	v_fmac_f32_e32 v11, 0x3f167918, v81
	v_fmac_f32_e32 v88, 0x3e9e377a, v90
	v_fmamk_f32 v66, v126, 0xbf737871, v107
	v_fmamk_f32 v67, v35, 0x3f737871, v111
	;; [unrolled: 1-line block ×3, first 2 shown]
	v_fmac_f32_e32 v113, 0xbf737871, v114
	v_fmac_f32_e32 v107, 0x3f737871, v126
	;; [unrolled: 1-line block ×3, first 2 shown]
	v_fmamk_f32 v121, v132, 0xbf737871, v34
	v_fmac_f32_e32 v34, 0x3f737871, v132
	v_fmamk_f32 v127, v128, 0xbf737871, v33
	v_fmac_f32_e32 v33, 0x3f737871, v128
	v_fmamk_f32 v129, v37, 0x3f737871, v120
	v_add_f32_e32 v36, v36, v80
	v_fmac_f32_e32 v68, 0xbf167918, v96
	v_fmac_f32_e32 v95, 0x3f167918, v96
	;; [unrolled: 1-line block ×22, first 2 shown]
	v_add_f32_e32 v19, v21, v0
	v_sub_f32_e32 v21, v21, v0
	v_fmac_f32_e32 v46, 0x3e9e377a, v8
	v_mul_f32_e32 v0, 0xbf167918, v31
	v_mul_f32_e32 v5, 0x3f167918, v32
	v_fmac_f32_e32 v41, 0xbf167918, v54
	v_fmac_f32_e32 v9, 0x3f167918, v54
	v_fmac_f32_e32 v42, 0x3f167918, v53
	v_fmac_f32_e32 v10, 0xbf167918, v53
	v_fmac_f32_e32 v43, 0x3e9e377a, v85
	v_fmac_f32_e32 v1, 0x3e9e377a, v85
	v_mul_f32_e32 v6, 0xbf737871, v44
	v_mul_f32_e32 v7, 0x3e9e377a, v44
	;; [unrolled: 1-line block ×4, first 2 shown]
	v_fmac_f32_e32 v123, 0x3f167918, v140
	v_fmac_f32_e32 v139, 0xbf167918, v141
	v_add_f32_e32 v20, v22, v2
	v_sub_f32_e32 v22, v22, v2
	v_fmac_f32_e32 v11, 0x3e9e377a, v82
	v_add_f32_e32 v24, v47, v27
	v_sub_f32_e32 v26, v47, v27
	v_add_f32_e32 v27, v48, v50
	v_sub_f32_e32 v2, v48, v50
	v_mul_f32_e32 v47, 0xbf167918, v88
	v_mul_f32_e32 v48, 0xbf4f1bbd, v88
	v_fmac_f32_e32 v69, 0xbf167918, v126
	v_fmac_f32_e32 v113, 0x3f167918, v126
	;; [unrolled: 1-line block ×10, first 2 shown]
	v_add_f32_e32 v23, v28, v3
	v_sub_f32_e32 v25, v28, v3
	v_add_f32_e32 v28, v49, v36
	v_sub_f32_e32 v3, v49, v36
	v_fmac_f32_e32 v68, 0x3e9e377a, v100
	v_fmac_f32_e32 v75, 0x3e9e377a, v83
	;; [unrolled: 1-line block ×7, first 2 shown]
	v_mul_f32_e32 v59, 0xbf737871, v4
	v_mul_f32_e32 v4, 0xbe9e377a, v4
	;; [unrolled: 1-line block ×13, first 2 shown]
	v_fmac_f32_e32 v120, 0xbf167918, v132
	v_fmac_f32_e32 v121, 0x3f167918, v37
	;; [unrolled: 1-line block ×7, first 2 shown]
	v_mul_f32_e32 v84, 0xbf737871, v46
	v_mul_f32_e32 v85, 0x3e9e377a, v46
	;; [unrolled: 1-line block ×3, first 2 shown]
	v_fmac_f32_e32 v0, 0x3f4f1bbd, v32
	v_fmac_f32_e32 v5, 0x3f4f1bbd, v31
	v_fmac_f32_e32 v41, 0x3e9e377a, v101
	v_fmac_f32_e32 v9, 0x3e9e377a, v101
	v_fmac_f32_e32 v42, 0x3e9e377a, v91
	v_fmac_f32_e32 v10, 0x3e9e377a, v91
	v_fmac_f32_e32 v6, 0x3e9e377a, v43
	v_fmac_f32_e32 v7, 0x3f737871, v43
	v_fmac_f32_e32 v8, 0xbe9e377a, v1
	v_fmac_f32_e32 v44, 0x3f737871, v1
	v_fmac_f32_e32 v123, 0x3e9e377a, v87
	v_fmac_f32_e32 v139, 0x3e9e377a, v94
	v_fmac_f32_e32 v47, 0xbf4f1bbd, v11
	v_fmac_f32_e32 v48, 0x3f167918, v11
	v_fmac_f32_e32 v66, 0x3e9e377a, v115
	v_fmac_f32_e32 v67, 0x3e9e377a, v112
	v_fmac_f32_e32 v69, 0x3e9e377a, v116
	v_fmac_f32_e32 v113, 0x3e9e377a, v116
	v_fmac_f32_e32 v107, 0x3e9e377a, v115
	v_fmac_f32_e32 v111, 0x3e9e377a, v112
	v_fmac_f32_e32 v34, 0x3e9e377a, v38
	v_fmac_f32_e32 v33, 0x3e9e377a, v99
	v_fmac_f32_e32 v127, 0x3e9e377a, v99
	v_fmac_f32_e32 v129, 0x3e9e377a, v122
	v_fmac_f32_e32 v49, 0x3f4f1bbd, v58
	v_fmac_f32_e32 v50, 0x3f4f1bbd, v57
	v_fmac_f32_e32 v53, 0x3e9e377a, v68
	v_fmac_f32_e32 v54, 0x3f737871, v68
	v_fmac_f32_e32 v59, 0xbe9e377a, v95
	v_fmac_f32_e32 v4, 0x3f737871, v95
	v_fmac_f32_e32 v79, 0xbf4f1bbd, v92
	v_fmac_f32_e32 v80, 0x3f167918, v92
	v_fmac_f32_e32 v77, 0xbe9e377a, v51
	v_fmac_f32_e32 v78, 0x3f737871, v51
	v_fmac_f32_e32 v81, 0xbf4f1bbd, v106
	v_fmac_f32_e32 v82, 0x3f4f1bbd, v30
	v_fmac_f32_e32 v83, 0x3f4f1bbd, v29
	v_fmac_f32_e32 v120, 0x3e9e377a, v122
	v_fmac_f32_e32 v121, 0x3e9e377a, v38
	v_fmac_f32_e32 v84, 0x3e9e377a, v76
	v_fmac_f32_e32 v85, 0x3f737871, v76
	v_fmac_f32_e32 v86, 0x3f167918, v106
	v_add_f32_e32 v29, v39, v0
	v_add_f32_e32 v30, v40, v5
	;; [unrolled: 1-line block ×8, first 2 shown]
	v_sub_f32_e32 v39, v39, v0
	v_sub_f32_e32 v40, v40, v5
	v_sub_f32_e32 v41, v41, v6
	v_sub_f32_e32 v42, v42, v7
	v_sub_f32_e32 v44, v10, v44
	v_sub_f32_e32 v43, v9, v8
	v_sub_f32_e32 v45, v123, v47
	v_sub_f32_e32 v46, v139, v48
	v_add_f32_e32 v47, v66, v49
	v_add_f32_e32 v48, v67, v50
	v_sub_f32_e32 v49, v66, v49
	v_sub_f32_e32 v50, v67, v50
	v_add_f32_e32 v51, v69, v53
	v_add_f32_e32 v52, v75, v54
	v_sub_f32_e32 v53, v69, v53
	v_sub_f32_e32 v54, v75, v54
	;; [unrolled: 4-line block ×4, first 2 shown]
	v_add_f32_e32 v76, v34, v78
	v_sub_f32_e32 v5, v34, v78
	v_add_f32_e32 v75, v124, v77
	v_add_f32_e32 v0, v33, v81
	v_sub_f32_e32 v6, v33, v81
	v_add_f32_e32 v33, v127, v82
	v_add_f32_e32 v34, v129, v83
	v_sub_f32_e32 v4, v124, v77
	v_sub_f32_e32 v8, v127, v82
	;; [unrolled: 1-line block ×4, first 2 shown]
	v_add_f32_e32 v77, v125, v84
	v_add_f32_e32 v78, v121, v85
	v_sub_f32_e32 v11, v121, v85
	v_add_f32_e32 v1, v120, v86
	v_sub_f32_e32 v7, v120, v86
	ds_write2_b64 v13, v[19:20], v[29:30] offset1:1
	ds_write2_b64 v13, v[31:32], v[35:36] offset0:2 offset1:3
	ds_write2_b64 v13, v[37:38], v[21:22] offset0:4 offset1:5
	;; [unrolled: 1-line block ×9, first 2 shown]
	ds_write2_b64 v14, v[27:28], v[33:34] offset1:1
	ds_write2_b64 v15, v[77:78], v[75:76] offset1:1
	;; [unrolled: 1-line block ×5, first 2 shown]
	s_waitcnt lgkmcnt(0)
	s_barrier
	buffer_gl0_inv
	ds_read_b64 v[66:67], v72
	ds_read2_b64 v[56:59], v74 offset0:60 offset1:76
	ds_read2_b64 v[32:35], v74 offset0:92 offset1:120
	;; [unrolled: 1-line block ×6, first 2 shown]
	ds_read_b32 v75, v74 offset:3364
	ds_read_b64 v[68:69], v74 offset:3360
	ds_read2_b64 v[16:19], v74 offset0:16 offset1:32
	ds_read2_b64 v[44:47], v74 offset0:136 offset1:152
	ds_read2_b64 v[40:43], v12 offset1:16
	ds_read2_b64 v[36:39], v12 offset0:120 offset1:136
	ds_read2_b64 v[28:31], v12 offset0:180 offset1:196
                                        ; implicit-def: $vgpr13
	s_and_saveexec_b32 s1, s0
	s_cbranch_execz .LBB0_21
; %bb.20:
	ds_read2_b64 v[0:3], v74 offset0:48 offset1:108
	ds_read2_b64 v[8:11], v74 offset0:168 offset1:228
	;; [unrolled: 1-line block ×4, first 2 shown]
.LBB0_21:
	s_or_b32 exec_lo, exec_lo, s1
	s_waitcnt lgkmcnt(5)
	v_add_nc_u32_e32 v69, -10, v60
	v_cmp_gt_u32_e64 s1, 10, v60
	v_mov_b32_e32 v77, 0
	v_or_b32_e32 v91, 32, v60
	v_mov_b32_e32 v122, 3
	v_cndmask_b32_e64 v119, v69, v60, s1
	v_or_b32_e32 v69, 16, v60
	v_mul_i32_i24_e32 v76, 7, v119
	v_lshlrev_b64 v[76:77], 3, v[76:77]
	v_add_co_u32 v89, s1, s12, v76
	v_and_b32_e32 v76, 0xff, v69
	v_add_co_ci_u32_e64 v90, s1, s13, v77, s1
	v_cmp_lt_u32_e64 s1, 9, v60
	v_mul_lo_u16 v76, 0xcd, v76
	s_clause 0x3
	global_load_dwordx4 v[77:80], v[89:90], off
	global_load_dwordx4 v[81:84], v[89:90], off offset:16
	global_load_dwordx4 v[85:88], v[89:90], off offset:32
	global_load_dwordx2 v[113:114], v[89:90], off offset:48
	v_lshrrev_b16 v120, 11, v76
	v_and_b32_e32 v76, 0xff, v91
	v_cndmask_b32_e64 v125, 0, 0x50, s1
	v_mul_lo_u16 v89, v120, 10
	v_mul_lo_u16 v76, 0xcd, v76
	;; [unrolled: 1-line block ×3, first 2 shown]
	v_or_b32_e32 v119, v125, v119
	v_sub_nc_u16 v121, v69, v89
	v_lshrrev_b16 v123, 11, v76
	v_lshlrev_b32_e32 v119, 3, v119
	v_mul_lo_u16 v69, v121, 7
	v_mul_lo_u16 v76, v123, 10
	v_or_b32_e32 v120, v120, v121
	v_add3_u32 v119, 0, v119, v73
	v_lshlrev_b32_sdwa v101, v122, v69 dst_sel:DWORD dst_unused:UNUSED_PAD src0_sel:DWORD src1_sel:BYTE_0
	v_mov_b32_e32 v69, 7
	v_sub_nc_u16 v124, v91, v76
	s_clause 0x2
	global_load_dwordx4 v[89:92], v101, s[12:13]
	global_load_dwordx4 v[93:96], v101, s[12:13] offset:16
	global_load_dwordx4 v[97:100], v101, s[12:13] offset:32
	v_mul_u32_u24_sdwa v76, v124, v69 dst_sel:DWORD dst_unused:UNUSED_PAD src0_sel:BYTE_0 src1_sel:DWORD
	v_lshlrev_b32_sdwa v120, v122, v120 dst_sel:DWORD dst_unused:UNUSED_PAD src0_sel:DWORD src1_sel:BYTE_0
	v_lshlrev_b32_e32 v76, 3, v76
	s_clause 0x4
	global_load_dwordx2 v[115:116], v101, s[12:13] offset:48
	global_load_dwordx4 v[101:104], v76, s[12:13]
	global_load_dwordx4 v[105:108], v76, s[12:13] offset:16
	global_load_dwordx4 v[109:112], v76, s[12:13] offset:32
	global_load_dwordx2 v[117:118], v76, s[12:13] offset:48
	v_mov_b32_e32 v76, 0x50
	s_waitcnt vmcnt(0) lgkmcnt(0)
	s_barrier
	buffer_gl0_inv
	v_add3_u32 v120, 0, v120, v73
	v_mul_u32_u24_sdwa v123, v123, v76 dst_sel:DWORD dst_unused:UNUSED_PAD src0_sel:WORD_0 src1_sel:DWORD
	v_or_b32_sdwa v121, v123, v124 dst_sel:DWORD dst_unused:UNUSED_PAD src0_sel:DWORD src1_sel:BYTE_0
	v_lshlrev_b32_e32 v121, 3, v121
	v_add3_u32 v121, 0, v121, v73
	v_mul_f32_e32 v122, v78, v57
	v_mul_f32_e32 v78, v78, v56
	;; [unrolled: 1-line block ×14, first 2 shown]
	v_fmac_f32_e32 v122, v77, v56
	v_fma_f32 v56, v77, v57, -v78
	v_fmac_f32_e32 v123, v79, v34
	v_fma_f32 v34, v79, v35, -v80
	;; [unrolled: 2-line block ×7, first 2 shown]
	v_sub_f32_e32 v48, v66, v125
	v_sub_f32_e32 v26, v67, v26
	;; [unrolled: 1-line block ×8, first 2 shown]
	v_mul_f32_e32 v57, v90, v59
	v_mul_f32_e32 v68, v90, v58
	;; [unrolled: 1-line block ×28, first 2 shown]
	v_fma_f32 v66, v66, 2.0, -v48
	v_fma_f32 v67, v67, 2.0, -v26
	;; [unrolled: 1-line block ×8, first 2 shown]
	v_add_f32_e32 v122, v48, v22
	v_sub_f32_e32 v49, v26, v49
	v_add_f32_e32 v123, v52, v23
	v_sub_f32_e32 v53, v27, v53
	v_fmac_f32_e32 v57, v89, v58
	v_fma_f32 v58, v89, v59, -v68
	v_fmac_f32_e32 v75, v44, v91
	v_fma_f32 v44, v45, v91, -v77
	;; [unrolled: 2-line block ×14, first 2 shown]
	v_sub_f32_e32 v31, v66, v114
	v_sub_f32_e32 v34, v67, v34
	v_fma_f32 v38, v48, 2.0, -v122
	v_fma_f32 v39, v26, 2.0, -v49
	v_sub_f32_e32 v26, v116, v118
	v_sub_f32_e32 v35, v56, v35
	v_fma_f32 v40, v52, 2.0, -v123
	v_fma_f32 v27, v27, 2.0, -v53
	v_fmamk_f32 v20, v123, 0x3f3504f3, v122
	v_fmamk_f32 v21, v53, 0x3f3504f3, v49
	v_sub_f32_e32 v41, v16, v80
	v_sub_f32_e32 v42, v17, v22
	;; [unrolled: 1-line block ×16, first 2 shown]
	v_fma_f32 v66, v66, 2.0, -v31
	v_fma_f32 v67, v67, 2.0, -v34
	;; [unrolled: 1-line block ×4, first 2 shown]
	v_fmamk_f32 v22, v40, 0xbf3504f3, v38
	v_fmamk_f32 v23, v27, 0xbf3504f3, v39
	v_add_f32_e32 v24, v31, v35
	v_sub_f32_e32 v25, v34, v26
	v_fmac_f32_e32 v20, 0x3f3504f3, v53
	v_fmac_f32_e32 v21, 0xbf3504f3, v123
	v_fma_f32 v35, v16, 2.0, -v41
	v_fma_f32 v53, v17, 2.0, -v42
	;; [unrolled: 1-line block ×8, first 2 shown]
	v_add_f32_e32 v36, v41, v36
	v_sub_f32_e32 v43, v42, v43
	v_add_f32_e32 v78, v46, v28
	v_sub_f32_e32 v48, v47, v48
	v_fma_f32 v79, v18, 2.0, -v50
	v_fma_f32 v80, v19, 2.0, -v51
	;; [unrolled: 1-line block ×8, first 2 shown]
	v_add_f32_e32 v83, v50, v37
	v_sub_f32_e32 v52, v51, v52
	v_add_f32_e32 v37, v54, v30
	v_sub_f32_e32 v59, v55, v59
	v_sub_f32_e32 v16, v66, v68
	;; [unrolled: 1-line block ×3, first 2 shown]
	v_fmac_f32_e32 v22, 0x3f3504f3, v27
	v_fmac_f32_e32 v23, 0xbf3504f3, v40
	v_fma_f32 v18, v31, 2.0, -v24
	v_fma_f32 v19, v34, 2.0, -v25
	;; [unrolled: 1-line block ×4, first 2 shown]
	v_sub_f32_e32 v34, v35, v75
	v_sub_f32_e32 v40, v53, v44
	v_fma_f32 v44, v41, 2.0, -v36
	v_fma_f32 v49, v42, 2.0, -v43
	v_sub_f32_e32 v41, v57, v77
	v_sub_f32_e32 v42, v58, v45
	v_fma_f32 v45, v46, 2.0, -v78
	v_fma_f32 v46, v47, 2.0, -v48
	ds_write2_b64 v119, v[24:25], v[20:21] offset0:60 offset1:70
	v_fmamk_f32 v20, v78, 0x3f3504f3, v36
	v_sub_f32_e32 v47, v79, v28
	v_sub_f32_e32 v56, v80, v32
	v_fma_f32 v50, v50, 2.0, -v83
	v_fma_f32 v51, v51, 2.0, -v52
	v_sub_f32_e32 v32, v81, v29
	v_sub_f32_e32 v33, v82, v33
	v_fma_f32 v54, v54, 2.0, -v37
	v_fma_f32 v55, v55, 2.0, -v59
	v_fmamk_f32 v21, v48, 0x3f3504f3, v43
	v_fma_f32 v28, v66, 2.0, -v16
	v_fma_f32 v29, v67, 2.0, -v17
	v_fma_f32 v30, v38, 2.0, -v22
	v_fma_f32 v31, v39, 2.0, -v23
	ds_write2_b64 v119, v[18:19], v[26:27] offset0:20 offset1:30
	ds_write2_b64 v119, v[16:17], v[22:23] offset0:40 offset1:50
	v_fma_f32 v66, v35, 2.0, -v34
	v_fma_f32 v53, v53, 2.0, -v40
	;; [unrolled: 1-line block ×4, first 2 shown]
	v_fmamk_f32 v16, v45, 0xbf3504f3, v44
	v_fmamk_f32 v17, v46, 0xbf3504f3, v49
	v_add_f32_e32 v18, v34, v42
	v_sub_f32_e32 v19, v40, v41
	v_fmac_f32_e32 v20, 0x3f3504f3, v48
	v_fma_f32 v48, v79, 2.0, -v47
	v_fma_f32 v57, v80, 2.0, -v56
	;; [unrolled: 1-line block ×4, first 2 shown]
	v_fmamk_f32 v22, v54, 0xbf3504f3, v50
	v_fmamk_f32 v23, v55, 0xbf3504f3, v51
	;; [unrolled: 1-line block ×4, first 2 shown]
	v_fmac_f32_e32 v21, 0xbf3504f3, v78
	ds_write2_b64 v119, v[28:29], v[30:31] offset1:10
	v_sub_f32_e32 v28, v66, v35
	v_sub_f32_e32 v29, v53, v38
	v_fmac_f32_e32 v16, 0x3f3504f3, v46
	v_fmac_f32_e32 v17, 0xbf3504f3, v45
	v_add_f32_e32 v26, v47, v33
	v_fma_f32 v30, v34, 2.0, -v18
	v_sub_f32_e32 v34, v48, v39
	v_sub_f32_e32 v35, v57, v41
	v_fmac_f32_e32 v22, 0x3f3504f3, v55
	v_fmac_f32_e32 v23, 0xbf3504f3, v54
	v_sub_f32_e32 v27, v56, v32
	v_fmac_f32_e32 v24, 0x3f3504f3, v59
	v_fmac_f32_e32 v25, 0xbf3504f3, v37
	v_fma_f32 v31, v40, 2.0, -v19
	v_fma_f32 v32, v36, 2.0, -v20
	;; [unrolled: 1-line block ×15, first 2 shown]
	ds_write2_b64 v120, v[18:19], v[20:21] offset0:60 offset1:70
	ds_write2_b64 v120, v[30:31], v[32:33] offset0:20 offset1:30
	;; [unrolled: 1-line block ×3, first 2 shown]
	ds_write2_b64 v120, v[40:41], v[42:43] offset1:10
	ds_write2_b64 v121, v[44:45], v[46:47] offset1:10
	ds_write2_b64 v121, v[36:37], v[38:39] offset0:20 offset1:30
	ds_write2_b64 v121, v[34:35], v[22:23] offset0:40 offset1:50
	;; [unrolled: 1-line block ×3, first 2 shown]
	s_and_saveexec_b32 s1, s0
	s_cbranch_execz .LBB0_23
; %bb.22:
	v_or_b32_e32 v16, 48, v60
	v_and_b32_e32 v17, 0xff, v16
	v_mul_lo_u16 v17, 0xcd, v17
	v_lshrrev_b16 v30, 11, v17
	v_mul_lo_u16 v17, v30, 10
	v_mul_u32_u24_sdwa v30, v30, v76 dst_sel:DWORD dst_unused:UNUSED_PAD src0_sel:WORD_0 src1_sel:DWORD
	v_sub_nc_u16 v31, v16, v17
	v_mul_u32_u24_sdwa v16, v31, v69 dst_sel:DWORD dst_unused:UNUSED_PAD src0_sel:BYTE_0 src1_sel:DWORD
	v_or_b32_sdwa v30, v30, v31 dst_sel:DWORD dst_unused:UNUSED_PAD src0_sel:DWORD src1_sel:BYTE_0
	v_lshlrev_b32_e32 v28, 3, v16
	v_lshlrev_b32_e32 v30, 3, v30
	s_clause 0x3
	global_load_dwordx4 v[16:19], v28, s[12:13] offset:16
	global_load_dwordx4 v[20:23], v28, s[12:13]
	global_load_dwordx4 v[24:27], v28, s[12:13] offset:32
	global_load_dwordx2 v[28:29], v28, s[12:13] offset:48
	s_waitcnt vmcnt(3)
	v_mul_f32_e32 v31, v4, v19
	s_waitcnt vmcnt(2)
	v_mul_f32_e32 v32, v9, v23
	;; [unrolled: 2-line block ×3, first 2 shown]
	v_mul_f32_e32 v34, v2, v21
	v_mul_f32_e32 v35, v6, v25
	;; [unrolled: 1-line block ×3, first 2 shown]
	s_waitcnt vmcnt(0)
	v_mul_f32_e32 v37, v15, v29
	v_mul_f32_e32 v17, v10, v17
	;; [unrolled: 1-line block ×8, first 2 shown]
	v_fma_f32 v5, v5, v18, -v31
	v_fmac_f32_e32 v32, v8, v22
	v_fmac_f32_e32 v33, v12, v26
	v_fma_f32 v3, v3, v20, -v34
	v_fma_f32 v7, v7, v24, -v35
	v_fmac_f32_e32 v36, v10, v16
	v_fmac_f32_e32 v37, v14, v28
	v_fma_f32 v8, v11, v16, -v17
	;; [unrolled: 4-line block ×3, first 2 shown]
	v_fma_f32 v6, v13, v26, -v27
	v_fmac_f32_e32 v19, v4, v18
	v_sub_f32_e32 v4, v1, v5
	v_sub_f32_e32 v5, v32, v33
	v_sub_f32_e32 v7, v3, v7
	v_sub_f32_e32 v9, v36, v37
	v_sub_f32_e32 v10, v8, v10
	v_sub_f32_e32 v11, v21, v25
	v_sub_f32_e32 v6, v2, v6
	v_sub_f32_e32 v12, v0, v19
	v_sub_f32_e32 v13, v4, v5
	v_sub_f32_e32 v14, v7, v9
	v_add_f32_e32 v15, v11, v10
	v_fma_f32 v18, v1, 2.0, -v4
	v_add_f32_e32 v17, v12, v6
	v_fma_f32 v2, v2, 2.0, -v6
	v_fma_f32 v6, v21, 2.0, -v11
	;; [unrolled: 1-line block ×7, first 2 shown]
	v_fmamk_f32 v1, v14, 0x3f3504f3, v13
	v_fmamk_f32 v0, v15, 0x3f3504f3, v17
	v_sub_f32_e32 v8, v18, v2
	v_sub_f32_e32 v9, v6, v9
	;; [unrolled: 1-line block ×4, first 2 shown]
	v_fma_f32 v22, v4, 2.0, -v13
	v_fma_f32 v23, v7, 2.0, -v14
	;; [unrolled: 1-line block ×4, first 2 shown]
	v_fmac_f32_e32 v1, 0xbf3504f3, v15
	v_fmac_f32_e32 v0, 0x3f3504f3, v14
	v_add_f32_e32 v2, v21, v10
	v_fmamk_f32 v5, v23, 0xbf3504f3, v22
	v_fmamk_f32 v4, v11, 0xbf3504f3, v12
	v_fma_f32 v14, v18, 2.0, -v8
	v_fma_f32 v10, v20, 2.0, -v10
	;; [unrolled: 1-line block ×4, first 2 shown]
	v_sub_f32_e32 v3, v8, v9
	v_fmac_f32_e32 v5, 0xbf3504f3, v11
	v_fmac_f32_e32 v4, 0x3f3504f3, v23
	v_sub_f32_e32 v11, v14, v10
	v_sub_f32_e32 v10, v18, v15
	v_add3_u32 v16, 0, v30, v73
	v_fma_f32 v7, v13, 2.0, -v1
	v_fma_f32 v6, v17, 2.0, -v0
	;; [unrolled: 1-line block ×8, first 2 shown]
	ds_write2_b64 v16, v[8:9], v[6:7] offset0:20 offset1:30
	ds_write2_b64 v16, v[10:11], v[4:5] offset0:40 offset1:50
	ds_write2_b64 v16, v[14:15], v[12:13] offset1:10
	ds_write2_b64 v16, v[2:3], v[0:1] offset0:60 offset1:70
.LBB0_23:
	s_or_b32 exec_lo, exec_lo, s1
	v_mul_u32_u24_e32 v0, 5, v60
	s_waitcnt lgkmcnt(0)
	s_barrier
	buffer_gl0_inv
	v_add_nc_u32_e32 v11, 0x800, v74
	v_lshlrev_b32_e32 v0, 3, v0
	v_lshl_add_u32 v10, v71, 3, v61
	s_clause 0x8
	global_load_dwordx4 v[12:15], v0, s[12:13] offset:560
	global_load_dwordx4 v[16:19], v0, s[12:13] offset:576
	global_load_dwordx2 v[111:112], v0, s[12:13] offset:592
	global_load_dwordx4 v[20:23], v0, s[12:13] offset:1200
	global_load_dwordx4 v[24:27], v0, s[12:13] offset:1216
	global_load_dwordx2 v[113:114], v0, s[12:13] offset:1232
	;; [unrolled: 3-line block ×3, first 2 shown]
	v_add_nc_u32_e32 v2, 0xa00, v0
	v_add_co_u32 v0, s0, s12, v0
	v_add_co_ci_u32_e64 v1, null, s13, 0, s0
	s_clause 0x1
	global_load_dwordx4 v[36:39], v2, s[12:13] offset:560
	global_load_dwordx4 v[40:43], v2, s[12:13] offset:576
	v_add_co_u32 v0, s0, 0x280, v0
	v_add_co_ci_u32_e64 v1, s0, 0, v1, s0
	s_clause 0x3
	global_load_dwordx2 v[117:118], v2, s[12:13] offset:592
	global_load_dwordx4 v[44:47], v[0:1], off offset:1840
	global_load_dwordx4 v[48:51], v[0:1], off offset:1856
	global_load_dwordx2 v[119:120], v[0:1], off offset:1872
	v_add_nc_u32_e32 v0, 0x400, v74
	ds_read2_b64 v[52:55], v74 offset0:80 offset1:96
	ds_read2_b64 v[56:59], v74 offset0:144 offset1:160
	;; [unrolled: 1-line block ×10, first 2 shown]
	ds_read_b64 v[8:9], v72
	ds_read_b64 v[71:72], v74 offset:3712
	ds_read2_b64 v[95:98], v11 offset0:80 offset1:96
	ds_read2_b64 v[99:102], v11 offset0:16 offset1:32
	;; [unrolled: 1-line block ×4, first 2 shown]
	s_waitcnt vmcnt(0) lgkmcnt(0)
	s_barrier
	buffer_gl0_inv
	v_mul_f32_e32 v61, v53, v13
	v_mul_f32_e32 v13, v52, v13
	;; [unrolled: 1-line block ×30, first 2 shown]
	v_fmac_f32_e32 v61, v52, v12
	v_fma_f32 v52, v53, v12, -v13
	v_fmac_f32_e32 v73, v58, v14
	v_fma_f32 v12, v59, v14, -v15
	;; [unrolled: 2-line block ×14, first 2 shown]
	v_mul_f32_e32 v54, v57, v37
	v_mul_f32_e32 v25, v56, v37
	;; [unrolled: 1-line block ×10, first 2 shown]
	v_fma_f32 v23, v98, v34, -v35
	v_fmac_f32_e32 v133, v103, v115
	v_mul_f32_e32 v55, v90, v45
	v_mul_f32_e32 v34, v89, v45
	;; [unrolled: 1-line block ×7, first 2 shown]
	v_fmac_f32_e32 v54, v56, v36
	v_fma_f32 v36, v57, v36, -v25
	v_fmac_f32_e32 v26, v93, v38
	v_fma_f32 v25, v94, v38, -v27
	;; [unrolled: 2-line block ×5, first 2 shown]
	v_add_f32_e32 v33, v8, v73
	v_add_f32_e32 v38, v73, v122
	v_sub_f32_e32 v40, v12, v14
	v_add_f32_e32 v42, v9, v12
	v_add_f32_e32 v12, v12, v14
	;; [unrolled: 1-line block ×4, first 2 shown]
	v_sub_f32_e32 v58, v13, v15
	v_add_f32_e32 v59, v52, v13
	v_add_f32_e32 v13, v13, v15
	v_add_f32_e32 v68, v125, v127
	v_sub_f32_e32 v69, v16, v18
	v_add_f32_e32 v71, v5, v16
	v_add_f32_e32 v16, v16, v18
	v_add_f32_e32 v75, v126, v128
	;; [unrolled: 4-line block ×3, first 2 shown]
	v_sub_f32_e32 v86, v21, v24
	v_add_f32_e32 v87, v22, v21
	v_add_f32_e32 v21, v21, v24
	v_mul_f32_e32 v35, v92, v47
	v_mul_f32_e32 v43, v108, v51
	;; [unrolled: 1-line block ×3, first 2 shown]
	v_sub_f32_e32 v51, v73, v122
	v_sub_f32_e32 v66, v121, v123
	v_add_f32_e32 v67, v4, v125
	v_sub_f32_e32 v72, v125, v127
	v_add_f32_e32 v73, v124, v126
	;; [unrolled: 2-line block ×4, first 2 shown]
	v_add_f32_e32 v20, v20, v23
	v_add_f32_e32 v84, v129, v131
	;; [unrolled: 1-line block ×3, first 2 shown]
	v_sub_f32_e32 v88, v131, v133
	v_fmac_f32_e32 v55, v89, v44
	v_fma_f32 v89, v90, v44, -v34
	v_fma_f32 v34, v92, v46, -v37
	;; [unrolled: 1-line block ×5, first 2 shown]
	v_add_f32_e32 v33, v33, v122
	v_fma_f32 v8, -0.5, v38, v8
	v_add_f32_e32 v14, v42, v14
	v_fmac_f32_e32 v9, -0.5, v12
	v_add_f32_e32 v12, v56, v123
	v_fmac_f32_e32 v61, -0.5, v57
	v_fmac_f32_e32 v52, -0.5, v13
	v_fma_f32 v42, -0.5, v68, v4
	v_fma_f32 v45, -0.5, v16, v5
	v_fmac_f32_e32 v124, -0.5, v75
	v_fmac_f32_e32 v53, -0.5, v17
	v_fma_f32 v6, -0.5, v80, v6
	v_fmac_f32_e32 v22, -0.5, v21
	v_sub_f32_e32 v83, v130, v132
	v_fmac_f32_e32 v35, v91, v46
	v_fmac_f32_e32 v39, v101, v48
	;; [unrolled: 1-line block ×4, first 2 shown]
	v_add_f32_e32 v15, v59, v15
	v_add_f32_e32 v38, v67, v127
	;; [unrolled: 1-line block ×7, first 2 shown]
	v_fmac_f32_e32 v7, -0.5, v20
	v_add_f32_e32 v20, v84, v133
	v_fmac_f32_e32 v129, -0.5, v85
	v_add_f32_e32 v24, v87, v24
	v_add_f32_e32 v48, v2, v26
	v_sub_f32_e32 v50, v25, v29
	v_add_f32_e32 v56, v3, v25
	v_add_f32_e32 v25, v25, v29
	;; [unrolled: 1-line block ×4, first 2 shown]
	v_sub_f32_e32 v67, v27, v31
	v_add_f32_e32 v68, v36, v27
	v_add_f32_e32 v27, v27, v31
	v_fmamk_f32 v71, v40, 0xbf5db3d7, v8
	v_fmac_f32_e32 v8, 0x3f5db3d7, v40
	v_fmamk_f32 v40, v51, 0x3f5db3d7, v9
	v_fmac_f32_e32 v9, 0xbf5db3d7, v51
	;; [unrolled: 2-line block ×4, first 2 shown]
	v_add_f32_e32 v4, v33, v12
	v_sub_f32_e32 v12, v33, v12
	v_fmamk_f32 v66, v69, 0xbf5db3d7, v42
	v_fmac_f32_e32 v42, 0x3f5db3d7, v69
	v_fmamk_f32 v69, v72, 0x3f5db3d7, v45
	v_fmac_f32_e32 v45, 0xbf5db3d7, v72
	;; [unrolled: 2-line block ×5, first 2 shown]
	v_fmamk_f32 v76, v88, 0x3f5db3d7, v22
	v_sub_f32_e32 v80, v37, v44
	v_add_f32_e32 v81, v89, v37
	v_add_f32_e32 v37, v37, v44
	;; [unrolled: 1-line block ×3, first 2 shown]
	v_sub_f32_e32 v26, v26, v30
	v_sub_f32_e32 v28, v28, v32
	v_add_f32_e32 v5, v14, v15
	v_sub_f32_e32 v13, v14, v15
	v_add_f32_e32 v14, v38, v16
	v_add_f32_e32 v15, v18, v19
	v_sub_f32_e32 v16, v38, v16
	v_sub_f32_e32 v17, v18, v19
	v_fmamk_f32 v75, v83, 0x3f5db3d7, v7
	v_fmac_f32_e32 v7, 0xbf5db3d7, v83
	v_fmamk_f32 v38, v86, 0xbf5db3d7, v129
	v_add_f32_e32 v18, v46, v20
	v_add_f32_e32 v19, v23, v24
	v_sub_f32_e32 v20, v46, v20
	v_sub_f32_e32 v21, v23, v24
	v_add_f32_e32 v23, v0, v35
	v_add_f32_e32 v24, v35, v43
	v_sub_f32_e32 v46, v34, v41
	v_add_f32_e32 v77, v1, v34
	v_add_f32_e32 v34, v34, v41
	;; [unrolled: 1-line block ×4, first 2 shown]
	v_sub_f32_e32 v39, v39, v47
	v_add_f32_e32 v82, v48, v30
	v_add_f32_e32 v83, v56, v29
	v_fmac_f32_e32 v3, -0.5, v25
	v_add_f32_e32 v84, v57, v32
	v_fmac_f32_e32 v54, -0.5, v59
	;; [unrolled: 2-line block ×3, first 2 shown]
	v_mul_f32_e32 v31, 0xbf5db3d7, v52
	v_mul_f32_e32 v32, 0.5, v58
	v_mul_f32_e32 v48, -0.5, v52
	v_mul_f32_e32 v52, 0xbf5db3d7, v53
	v_mul_f32_e32 v56, 0.5, v72
	v_mul_f32_e32 v53, -0.5, v53
	v_mul_f32_e32 v57, 0xbf5db3d7, v76
	v_fmac_f32_e32 v89, -0.5, v37
	v_fmac_f32_e32 v22, 0xbf5db3d7, v88
	v_sub_f32_e32 v35, v35, v43
	v_fma_f32 v2, -0.5, v49, v2
	v_mul_f32_e32 v30, 0xbf5db3d7, v58
	v_mul_f32_e32 v49, 0xbf5db3d7, v72
	v_mul_f32_e32 v68, 0.5, v76
	v_add_f32_e32 v25, v23, v43
	v_fma_f32 v76, -0.5, v24, v0
	v_add_f32_e32 v27, v77, v41
	v_fma_f32 v1, -0.5, v34, v1
	v_add_f32_e32 v24, v78, v47
	v_fmac_f32_e32 v55, -0.5, v79
	v_add_f32_e32 v29, v81, v44
	v_fmamk_f32 v78, v26, 0x3f5db3d7, v3
	v_fmac_f32_e32 v3, 0xbf5db3d7, v26
	v_fmamk_f32 v26, v28, 0x3f5db3d7, v36
	v_fmac_f32_e32 v36, 0xbf5db3d7, v28
	v_fmac_f32_e32 v31, -0.5, v61
	v_fmac_f32_e32 v32, 0x3f5db3d7, v51
	v_fmac_f32_e32 v48, 0x3f5db3d7, v61
	v_fmac_f32_e32 v52, -0.5, v124
	v_fmac_f32_e32 v56, 0x3f5db3d7, v33
	v_fmac_f32_e32 v53, 0x3f5db3d7, v124
	v_fmac_f32_e32 v57, 0.5, v38
	v_fmamk_f32 v61, v39, 0x3f5db3d7, v89
	v_fmac_f32_e32 v89, 0xbf5db3d7, v39
	v_fmac_f32_e32 v129, 0x3f5db3d7, v86
	v_mul_f32_e32 v58, 0xbf5db3d7, v22
	v_mul_f32_e32 v72, -0.5, v22
	v_fmamk_f32 v77, v50, 0xbf5db3d7, v2
	v_fmac_f32_e32 v2, 0x3f5db3d7, v50
	v_fmamk_f32 v47, v67, 0xbf5db3d7, v54
	v_fmac_f32_e32 v54, 0x3f5db3d7, v67
	v_fmac_f32_e32 v30, 0.5, v51
	v_fmac_f32_e32 v49, 0.5, v33
	v_fmac_f32_e32 v68, 0x3f5db3d7, v38
	v_fmamk_f32 v50, v46, 0xbf5db3d7, v76
	v_fmac_f32_e32 v76, 0x3f5db3d7, v46
	v_fmamk_f32 v51, v35, 0x3f5db3d7, v1
	v_fmac_f32_e32 v1, 0xbf5db3d7, v35
	v_fmamk_f32 v46, v80, 0xbf5db3d7, v55
	v_fmac_f32_e32 v55, 0x3f5db3d7, v80
	v_add_f32_e32 v22, v25, v24
	v_add_f32_e32 v23, v27, v29
	v_sub_f32_e32 v24, v25, v24
	v_sub_f32_e32 v25, v27, v29
	v_mul_f32_e32 v67, 0xbf5db3d7, v26
	v_mul_f32_e32 v79, 0xbf5db3d7, v36
	v_mul_f32_e32 v80, 0.5, v26
	v_mul_f32_e32 v81, -0.5, v36
	v_add_f32_e32 v28, v8, v31
	v_add_f32_e32 v27, v40, v32
	v_sub_f32_e32 v8, v8, v31
	v_sub_f32_e32 v31, v40, v32
	v_add_f32_e32 v34, v42, v52
	v_add_f32_e32 v33, v69, v56
	;; [unrolled: 1-line block ×3, first 2 shown]
	v_sub_f32_e32 v38, v42, v52
	v_sub_f32_e32 v37, v69, v56
	;; [unrolled: 1-line block ×3, first 2 shown]
	v_add_f32_e32 v40, v73, v57
	v_sub_f32_e32 v44, v73, v57
	v_mul_f32_e32 v52, 0xbf5db3d7, v61
	v_mul_f32_e32 v53, 0xbf5db3d7, v89
	v_mul_f32_e32 v56, 0.5, v61
	v_mul_f32_e32 v57, -0.5, v89
	v_fmac_f32_e32 v58, -0.5, v129
	v_fmac_f32_e32 v72, 0x3f5db3d7, v129
	v_add_f32_e32 v29, v9, v48
	v_add_f32_e32 v26, v71, v30
	v_sub_f32_e32 v30, v71, v30
	v_sub_f32_e32 v9, v9, v48
	v_fmac_f32_e32 v67, 0.5, v47
	v_fmac_f32_e32 v79, -0.5, v54
	v_fmac_f32_e32 v52, 0.5, v46
	v_fmac_f32_e32 v53, -0.5, v55
	v_fmac_f32_e32 v56, 0x3f5db3d7, v46
	v_fmac_f32_e32 v57, 0x3f5db3d7, v55
	;; [unrolled: 1-line block ×4, first 2 shown]
	v_add_f32_e32 v32, v66, v49
	v_add_f32_e32 v41, v75, v68
	;; [unrolled: 1-line block ×4, first 2 shown]
	ds_write2_b64 v74, v[28:29], v[12:13] offset0:160 offset1:240
	v_add_nc_u32_e32 v12, 0x800, v10
	v_add_f32_e32 v0, v82, v84
	v_sub_f32_e32 v36, v66, v49
	v_sub_f32_e32 v6, v6, v58
	;; [unrolled: 1-line block ×4, first 2 shown]
	v_add_f32_e32 v46, v50, v52
	v_add_f32_e32 v48, v76, v53
	;; [unrolled: 1-line block ×4, first 2 shown]
	v_sub_f32_e32 v50, v50, v52
	v_sub_f32_e32 v52, v76, v53
	;; [unrolled: 1-line block ×4, first 2 shown]
	v_add_f32_e32 v54, v77, v67
	v_add_f32_e32 v56, v2, v79
	;; [unrolled: 1-line block ×5, first 2 shown]
	v_sub_f32_e32 v58, v82, v84
	v_sub_f32_e32 v66, v77, v67
	v_sub_f32_e32 v2, v2, v79
	v_sub_f32_e32 v59, v83, v59
	v_sub_f32_e32 v67, v78, v80
	v_sub_f32_e32 v3, v3, v81
	ds_write2_b64 v11, v[30:31], v[8:9] offset0:64 offset1:144
	ds_write2_b64 v74, v[4:5], v[14:15] offset1:16
	ds_write2_b64 v10, v[32:33], v[40:41] offset0:96 offset1:112
	ds_write2_b64 v10, v[34:35], v[42:43] offset0:176 offset1:192
	ds_write2_b64 v12, v[16:17], v[20:21] offset1:16
	ds_write2_b64 v12, v[36:37], v[44:45] offset0:80 offset1:96
	ds_write2_b64 v12, v[38:39], v[6:7] offset0:160 offset1:176
	;; [unrolled: 1-line block ×9, first 2 shown]
	s_waitcnt lgkmcnt(0)
	s_barrier
	buffer_gl0_inv
	s_and_saveexec_b32 s0, vcc_lo
	s_cbranch_execz .LBB0_25
; %bb.24:
	v_mul_lo_u32 v2, s3, v64
	v_mul_lo_u32 v3, s2, v65
	v_mad_u64_u32 v[0:1], null, s2, v64, 0
	v_lshl_add_u32 v20, v60, 3, v70
	v_mov_b32_e32 v61, 0
	v_lshlrev_b64 v[4:5], 3, v[62:63]
	v_add_nc_u32_e32 v6, 16, v60
	v_add_nc_u32_e32 v8, 32, v60
	;; [unrolled: 1-line block ×3, first 2 shown]
	v_add3_u32 v1, v1, v3, v2
	v_lshlrev_b64 v[13:14], 3, v[60:61]
	v_mov_b32_e32 v7, v61
	v_mov_b32_e32 v9, v61
	v_add_nc_u32_e32 v16, 64, v60
	v_lshlrev_b64 v[11:12], 3, v[0:1]
	ds_read2_b64 v[0:3], v20 offset1:16
	v_mov_b32_e32 v17, v61
	v_add_nc_u32_e32 v18, 0x50, v60
	v_mov_b32_e32 v19, v61
	v_add_nc_u32_e32 v23, 0x800, v20
	v_add_co_u32 v15, vcc_lo, s10, v11
	v_add_co_ci_u32_e32 v12, vcc_lo, s11, v12, vcc_lo
	v_mov_b32_e32 v11, v61
	v_add_co_u32 v21, vcc_lo, v15, v4
	v_add_co_ci_u32_e32 v22, vcc_lo, v12, v5, vcc_lo
	v_lshlrev_b64 v[4:5], 3, v[6:7]
	v_add_co_u32 v6, vcc_lo, v21, v13
	v_add_co_ci_u32_e32 v7, vcc_lo, v22, v14, vcc_lo
	v_lshlrev_b64 v[14:15], 3, v[10:11]
	v_add_co_u32 v12, vcc_lo, v21, v4
	v_add_co_ci_u32_e32 v13, vcc_lo, v22, v5, vcc_lo
	s_waitcnt lgkmcnt(0)
	global_store_dwordx2 v[6:7], v[0:1], off
	ds_read2_b64 v[4:7], v20 offset0:32 offset1:48
	v_lshlrev_b64 v[0:1], 3, v[8:9]
	ds_read2_b64 v[8:11], v20 offset0:64 offset1:80
	v_lshlrev_b64 v[16:17], 3, v[16:17]
	v_add_co_u32 v0, vcc_lo, v21, v0
	v_add_co_ci_u32_e32 v1, vcc_lo, v22, v1, vcc_lo
	v_add_co_u32 v14, vcc_lo, v21, v14
	v_add_co_ci_u32_e32 v15, vcc_lo, v22, v15, vcc_lo
	v_add_co_u32 v16, vcc_lo, v21, v16
	v_add_co_ci_u32_e32 v17, vcc_lo, v22, v17, vcc_lo
	global_store_dwordx2 v[12:13], v[2:3], off
	s_waitcnt lgkmcnt(1)
	global_store_dwordx2 v[0:1], v[4:5], off
	global_store_dwordx2 v[14:15], v[6:7], off
	s_waitcnt lgkmcnt(0)
	global_store_dwordx2 v[16:17], v[8:9], off
	v_lshlrev_b64 v[0:1], 3, v[18:19]
	v_add_nc_u32_e32 v4, 0x60, v60
	v_mov_b32_e32 v5, v61
	v_add_nc_u32_e32 v6, 0x70, v60
	v_mov_b32_e32 v7, v61
	v_add_nc_u32_e32 v16, 0x80, v60
	v_add_co_u32 v8, vcc_lo, v21, v0
	v_add_co_ci_u32_e32 v9, vcc_lo, v22, v1, vcc_lo
	ds_read2_b64 v[0:3], v20 offset0:96 offset1:112
	v_lshlrev_b64 v[12:13], 3, v[4:5]
	v_lshlrev_b64 v[14:15], 3, v[6:7]
	ds_read2_b64 v[4:7], v20 offset0:128 offset1:144
	v_mov_b32_e32 v17, v61
	v_add_nc_u32_e32 v18, 0x90, v60
	v_add_co_u32 v12, vcc_lo, v21, v12
	v_lshlrev_b64 v[16:17], 3, v[16:17]
	v_add_co_ci_u32_e32 v13, vcc_lo, v22, v13, vcc_lo
	v_add_co_u32 v14, vcc_lo, v21, v14
	v_add_co_ci_u32_e32 v15, vcc_lo, v22, v15, vcc_lo
	v_add_co_u32 v16, vcc_lo, v21, v16
	v_add_co_ci_u32_e32 v17, vcc_lo, v22, v17, vcc_lo
	global_store_dwordx2 v[8:9], v[10:11], off
	s_waitcnt lgkmcnt(1)
	global_store_dwordx2 v[12:13], v[0:1], off
	global_store_dwordx2 v[14:15], v[2:3], off
	s_waitcnt lgkmcnt(0)
	global_store_dwordx2 v[16:17], v[4:5], off
	v_lshlrev_b64 v[0:1], 3, v[18:19]
	v_add_nc_u32_e32 v8, 0xb0, v60
	v_mov_b32_e32 v9, v61
	v_add_nc_u32_e32 v4, 0xa0, v60
	v_mov_b32_e32 v5, v61
	v_add_nc_u32_e32 v16, 0xc0, v60
	v_add_co_u32 v12, vcc_lo, v21, v0
	v_add_co_ci_u32_e32 v13, vcc_lo, v22, v1, vcc_lo
	ds_read2_b64 v[0:3], v20 offset0:160 offset1:176
	v_lshlrev_b64 v[14:15], 3, v[8:9]
	ds_read2_b64 v[8:11], v20 offset0:192 offset1:208
	v_lshlrev_b64 v[4:5], 3, v[4:5]
	v_mov_b32_e32 v17, v61
	v_add_nc_u32_e32 v18, 0xd0, v60
	v_add_co_u32 v4, vcc_lo, v21, v4
	v_lshlrev_b64 v[16:17], 3, v[16:17]
	v_add_co_ci_u32_e32 v5, vcc_lo, v22, v5, vcc_lo
	v_add_co_u32 v14, vcc_lo, v21, v14
	v_add_co_ci_u32_e32 v15, vcc_lo, v22, v15, vcc_lo
	v_add_co_u32 v16, vcc_lo, v21, v16
	v_add_co_ci_u32_e32 v17, vcc_lo, v22, v17, vcc_lo
	global_store_dwordx2 v[12:13], v[6:7], off
	s_waitcnt lgkmcnt(1)
	global_store_dwordx2 v[4:5], v[0:1], off
	global_store_dwordx2 v[14:15], v[2:3], off
	s_waitcnt lgkmcnt(0)
	global_store_dwordx2 v[16:17], v[8:9], off
	v_lshlrev_b64 v[0:1], 3, v[18:19]
	v_add_nc_u32_e32 v4, 0xe0, v60
	v_mov_b32_e32 v5, v61
	v_add_nc_u32_e32 v6, 0xf0, v60
	v_mov_b32_e32 v7, v61
	v_add_nc_u32_e32 v16, 0x100, v60
	v_add_co_u32 v8, vcc_lo, v21, v0
	v_add_co_ci_u32_e32 v9, vcc_lo, v22, v1, vcc_lo
	ds_read2_b64 v[0:3], v20 offset0:224 offset1:240
	v_lshlrev_b64 v[12:13], 3, v[4:5]
	v_lshlrev_b64 v[14:15], 3, v[6:7]
	ds_read2_b64 v[4:7], v23 offset1:16
	v_mov_b32_e32 v17, v61
	v_add_nc_u32_e32 v18, 0x110, v60
	v_add_co_u32 v12, vcc_lo, v21, v12
	v_lshlrev_b64 v[16:17], 3, v[16:17]
	v_add_co_ci_u32_e32 v13, vcc_lo, v22, v13, vcc_lo
	v_add_co_u32 v14, vcc_lo, v21, v14
	v_add_co_ci_u32_e32 v15, vcc_lo, v22, v15, vcc_lo
	v_add_co_u32 v16, vcc_lo, v21, v16
	v_add_co_ci_u32_e32 v17, vcc_lo, v22, v17, vcc_lo
	global_store_dwordx2 v[8:9], v[10:11], off
	s_waitcnt lgkmcnt(1)
	global_store_dwordx2 v[12:13], v[0:1], off
	global_store_dwordx2 v[14:15], v[2:3], off
	s_waitcnt lgkmcnt(0)
	global_store_dwordx2 v[16:17], v[4:5], off
	v_lshlrev_b64 v[0:1], 3, v[18:19]
	v_add_nc_u32_e32 v8, 0x130, v60
	v_mov_b32_e32 v9, v61
	v_add_nc_u32_e32 v4, 0x120, v60
	v_mov_b32_e32 v5, v61
	v_add_nc_u32_e32 v16, 0x140, v60
	v_add_co_u32 v12, vcc_lo, v21, v0
	v_add_co_ci_u32_e32 v13, vcc_lo, v22, v1, vcc_lo
	ds_read2_b64 v[0:3], v23 offset0:32 offset1:48
	v_lshlrev_b64 v[14:15], 3, v[8:9]
	ds_read2_b64 v[8:11], v23 offset0:64 offset1:80
	v_lshlrev_b64 v[4:5], 3, v[4:5]
	v_mov_b32_e32 v17, v61
	v_add_nc_u32_e32 v18, 0x150, v60
	v_add_co_u32 v4, vcc_lo, v21, v4
	v_lshlrev_b64 v[16:17], 3, v[16:17]
	v_add_co_ci_u32_e32 v5, vcc_lo, v22, v5, vcc_lo
	v_add_co_u32 v14, vcc_lo, v21, v14
	v_add_co_ci_u32_e32 v15, vcc_lo, v22, v15, vcc_lo
	v_add_co_u32 v16, vcc_lo, v21, v16
	v_add_co_ci_u32_e32 v17, vcc_lo, v22, v17, vcc_lo
	global_store_dwordx2 v[12:13], v[6:7], off
	s_waitcnt lgkmcnt(1)
	global_store_dwordx2 v[4:5], v[0:1], off
	global_store_dwordx2 v[14:15], v[2:3], off
	s_waitcnt lgkmcnt(0)
	global_store_dwordx2 v[16:17], v[8:9], off
	v_lshlrev_b64 v[0:1], 3, v[18:19]
	v_add_nc_u32_e32 v4, 0x160, v60
	v_mov_b32_e32 v5, v61
	v_add_nc_u32_e32 v6, 0x170, v60
	v_mov_b32_e32 v7, v61
	v_add_nc_u32_e32 v16, 0x180, v60
	v_add_co_u32 v8, vcc_lo, v21, v0
	v_add_co_ci_u32_e32 v9, vcc_lo, v22, v1, vcc_lo
	ds_read2_b64 v[0:3], v23 offset0:96 offset1:112
	v_lshlrev_b64 v[12:13], 3, v[4:5]
	v_lshlrev_b64 v[14:15], 3, v[6:7]
	ds_read2_b64 v[4:7], v23 offset0:128 offset1:144
	v_mov_b32_e32 v17, v61
	v_add_nc_u32_e32 v18, 0x190, v60
	v_add_co_u32 v12, vcc_lo, v21, v12
	v_lshlrev_b64 v[16:17], 3, v[16:17]
	v_add_co_ci_u32_e32 v13, vcc_lo, v22, v13, vcc_lo
	v_add_co_u32 v14, vcc_lo, v21, v14
	v_add_co_ci_u32_e32 v15, vcc_lo, v22, v15, vcc_lo
	v_add_co_u32 v16, vcc_lo, v21, v16
	v_add_co_ci_u32_e32 v17, vcc_lo, v22, v17, vcc_lo
	global_store_dwordx2 v[8:9], v[10:11], off
	s_waitcnt lgkmcnt(1)
	global_store_dwordx2 v[12:13], v[0:1], off
	global_store_dwordx2 v[14:15], v[2:3], off
	s_waitcnt lgkmcnt(0)
	global_store_dwordx2 v[16:17], v[4:5], off
	v_lshlrev_b64 v[0:1], 3, v[18:19]
	v_add_nc_u32_e32 v4, 0x1a0, v60
	v_mov_b32_e32 v5, v61
	v_add_nc_u32_e32 v8, 0x1b0, v60
	v_mov_b32_e32 v9, v61
	v_add_nc_u32_e32 v16, 0x1c0, v60
	v_add_co_u32 v12, vcc_lo, v21, v0
	v_add_co_ci_u32_e32 v13, vcc_lo, v22, v1, vcc_lo
	ds_read2_b64 v[0:3], v23 offset0:160 offset1:176
	v_lshlrev_b64 v[4:5], 3, v[4:5]
	v_lshlrev_b64 v[14:15], 3, v[8:9]
	v_mov_b32_e32 v17, v61
	ds_read2_b64 v[8:11], v23 offset0:192 offset1:208
	v_add_nc_u32_e32 v60, 0x1d0, v60
	v_add_co_u32 v4, vcc_lo, v21, v4
	v_lshlrev_b64 v[16:17], 3, v[16:17]
	v_add_co_ci_u32_e32 v5, vcc_lo, v22, v5, vcc_lo
	v_add_co_u32 v14, vcc_lo, v21, v14
	v_lshlrev_b64 v[18:19], 3, v[60:61]
	v_add_co_ci_u32_e32 v15, vcc_lo, v22, v15, vcc_lo
	v_add_co_u32 v16, vcc_lo, v21, v16
	v_add_co_ci_u32_e32 v17, vcc_lo, v22, v17, vcc_lo
	v_add_co_u32 v18, vcc_lo, v21, v18
	v_add_co_ci_u32_e32 v19, vcc_lo, v22, v19, vcc_lo
	global_store_dwordx2 v[12:13], v[6:7], off
	s_waitcnt lgkmcnt(1)
	global_store_dwordx2 v[4:5], v[0:1], off
	global_store_dwordx2 v[14:15], v[2:3], off
	s_waitcnt lgkmcnt(0)
	global_store_dwordx2 v[16:17], v[8:9], off
	global_store_dwordx2 v[18:19], v[10:11], off
.LBB0_25:
	s_endpgm
	.section	.rodata,"a",@progbits
	.p2align	6, 0x0
	.amdhsa_kernel fft_rtc_back_len480_factors_10_8_6_wgs_64_tpt_16_halfLds_sp_op_CI_CI_unitstride_sbrr_C2R_dirReg
		.amdhsa_group_segment_fixed_size 0
		.amdhsa_private_segment_fixed_size 0
		.amdhsa_kernarg_size 104
		.amdhsa_user_sgpr_count 6
		.amdhsa_user_sgpr_private_segment_buffer 1
		.amdhsa_user_sgpr_dispatch_ptr 0
		.amdhsa_user_sgpr_queue_ptr 0
		.amdhsa_user_sgpr_kernarg_segment_ptr 1
		.amdhsa_user_sgpr_dispatch_id 0
		.amdhsa_user_sgpr_flat_scratch_init 0
		.amdhsa_user_sgpr_private_segment_size 0
		.amdhsa_wavefront_size32 1
		.amdhsa_uses_dynamic_stack 0
		.amdhsa_system_sgpr_private_segment_wavefront_offset 0
		.amdhsa_system_sgpr_workgroup_id_x 1
		.amdhsa_system_sgpr_workgroup_id_y 0
		.amdhsa_system_sgpr_workgroup_id_z 0
		.amdhsa_system_sgpr_workgroup_info 0
		.amdhsa_system_vgpr_workitem_id 0
		.amdhsa_next_free_vgpr 145
		.amdhsa_next_free_sgpr 27
		.amdhsa_reserve_vcc 1
		.amdhsa_reserve_flat_scratch 0
		.amdhsa_float_round_mode_32 0
		.amdhsa_float_round_mode_16_64 0
		.amdhsa_float_denorm_mode_32 3
		.amdhsa_float_denorm_mode_16_64 3
		.amdhsa_dx10_clamp 1
		.amdhsa_ieee_mode 1
		.amdhsa_fp16_overflow 0
		.amdhsa_workgroup_processor_mode 1
		.amdhsa_memory_ordered 1
		.amdhsa_forward_progress 0
		.amdhsa_shared_vgpr_count 0
		.amdhsa_exception_fp_ieee_invalid_op 0
		.amdhsa_exception_fp_denorm_src 0
		.amdhsa_exception_fp_ieee_div_zero 0
		.amdhsa_exception_fp_ieee_overflow 0
		.amdhsa_exception_fp_ieee_underflow 0
		.amdhsa_exception_fp_ieee_inexact 0
		.amdhsa_exception_int_div_zero 0
	.end_amdhsa_kernel
	.text
.Lfunc_end0:
	.size	fft_rtc_back_len480_factors_10_8_6_wgs_64_tpt_16_halfLds_sp_op_CI_CI_unitstride_sbrr_C2R_dirReg, .Lfunc_end0-fft_rtc_back_len480_factors_10_8_6_wgs_64_tpt_16_halfLds_sp_op_CI_CI_unitstride_sbrr_C2R_dirReg
                                        ; -- End function
	.section	.AMDGPU.csdata,"",@progbits
; Kernel info:
; codeLenInByte = 13548
; NumSgprs: 29
; NumVgprs: 145
; ScratchSize: 0
; MemoryBound: 0
; FloatMode: 240
; IeeeMode: 1
; LDSByteSize: 0 bytes/workgroup (compile time only)
; SGPRBlocks: 3
; VGPRBlocks: 18
; NumSGPRsForWavesPerEU: 29
; NumVGPRsForWavesPerEU: 145
; Occupancy: 6
; WaveLimiterHint : 1
; COMPUTE_PGM_RSRC2:SCRATCH_EN: 0
; COMPUTE_PGM_RSRC2:USER_SGPR: 6
; COMPUTE_PGM_RSRC2:TRAP_HANDLER: 0
; COMPUTE_PGM_RSRC2:TGID_X_EN: 1
; COMPUTE_PGM_RSRC2:TGID_Y_EN: 0
; COMPUTE_PGM_RSRC2:TGID_Z_EN: 0
; COMPUTE_PGM_RSRC2:TIDIG_COMP_CNT: 0
	.text
	.p2alignl 6, 3214868480
	.fill 48, 4, 3214868480
	.type	__hip_cuid_b4b97e647932d1e2,@object ; @__hip_cuid_b4b97e647932d1e2
	.section	.bss,"aw",@nobits
	.globl	__hip_cuid_b4b97e647932d1e2
__hip_cuid_b4b97e647932d1e2:
	.byte	0                               ; 0x0
	.size	__hip_cuid_b4b97e647932d1e2, 1

	.ident	"AMD clang version 19.0.0git (https://github.com/RadeonOpenCompute/llvm-project roc-6.4.0 25133 c7fe45cf4b819c5991fe208aaa96edf142730f1d)"
	.section	".note.GNU-stack","",@progbits
	.addrsig
	.addrsig_sym __hip_cuid_b4b97e647932d1e2
	.amdgpu_metadata
---
amdhsa.kernels:
  - .args:
      - .actual_access:  read_only
        .address_space:  global
        .offset:         0
        .size:           8
        .value_kind:     global_buffer
      - .offset:         8
        .size:           8
        .value_kind:     by_value
      - .actual_access:  read_only
        .address_space:  global
        .offset:         16
        .size:           8
        .value_kind:     global_buffer
      - .actual_access:  read_only
        .address_space:  global
        .offset:         24
        .size:           8
        .value_kind:     global_buffer
      - .actual_access:  read_only
        .address_space:  global
        .offset:         32
        .size:           8
        .value_kind:     global_buffer
      - .offset:         40
        .size:           8
        .value_kind:     by_value
      - .actual_access:  read_only
        .address_space:  global
        .offset:         48
        .size:           8
        .value_kind:     global_buffer
      - .actual_access:  read_only
        .address_space:  global
        .offset:         56
        .size:           8
        .value_kind:     global_buffer
      - .offset:         64
        .size:           4
        .value_kind:     by_value
      - .actual_access:  read_only
        .address_space:  global
        .offset:         72
        .size:           8
        .value_kind:     global_buffer
      - .actual_access:  read_only
        .address_space:  global
        .offset:         80
        .size:           8
        .value_kind:     global_buffer
      - .actual_access:  read_only
        .address_space:  global
        .offset:         88
        .size:           8
        .value_kind:     global_buffer
      - .actual_access:  write_only
        .address_space:  global
        .offset:         96
        .size:           8
        .value_kind:     global_buffer
    .group_segment_fixed_size: 0
    .kernarg_segment_align: 8
    .kernarg_segment_size: 104
    .language:       OpenCL C
    .language_version:
      - 2
      - 0
    .max_flat_workgroup_size: 64
    .name:           fft_rtc_back_len480_factors_10_8_6_wgs_64_tpt_16_halfLds_sp_op_CI_CI_unitstride_sbrr_C2R_dirReg
    .private_segment_fixed_size: 0
    .sgpr_count:     29
    .sgpr_spill_count: 0
    .symbol:         fft_rtc_back_len480_factors_10_8_6_wgs_64_tpt_16_halfLds_sp_op_CI_CI_unitstride_sbrr_C2R_dirReg.kd
    .uniform_work_group_size: 1
    .uses_dynamic_stack: false
    .vgpr_count:     145
    .vgpr_spill_count: 0
    .wavefront_size: 32
    .workgroup_processor_mode: 1
amdhsa.target:   amdgcn-amd-amdhsa--gfx1030
amdhsa.version:
  - 1
  - 2
...

	.end_amdgpu_metadata
